;; amdgpu-corpus repo=ROCm/rocFFT kind=compiled arch=gfx1030 opt=O3
	.text
	.amdgcn_target "amdgcn-amd-amdhsa--gfx1030"
	.amdhsa_code_object_version 6
	.protected	bluestein_single_fwd_len2700_dim1_dp_op_CI_CI ; -- Begin function bluestein_single_fwd_len2700_dim1_dp_op_CI_CI
	.globl	bluestein_single_fwd_len2700_dim1_dp_op_CI_CI
	.p2align	8
	.type	bluestein_single_fwd_len2700_dim1_dp_op_CI_CI,@function
bluestein_single_fwd_len2700_dim1_dp_op_CI_CI: ; @bluestein_single_fwd_len2700_dim1_dp_op_CI_CI
; %bb.0:
	s_load_dwordx4 s[12:15], s[4:5], 0x28
	v_mul_u32_u24_e32 v1, 0x2d9, v0
	s_mov_b64 s[30:31], s[2:3]
	s_mov_b64 s[28:29], s[0:1]
	v_mov_b32_e32 v2, 0
	s_add_u32 s28, s28, s7
	v_lshrrev_b32_e32 v3, 16, v1
	s_addc_u32 s29, s29, 0
	s_mov_b32 s0, exec_lo
	v_add_nc_u32_e32 v1, s6, v3
	s_waitcnt lgkmcnt(0)
	v_cmpx_gt_u64_e64 s[12:13], v[1:2]
	s_cbranch_execz .LBB0_2
; %bb.1:
	s_clause 0x2
	s_load_dwordx4 s[8:11], s[4:5], 0x0
	s_load_dwordx4 s[16:19], s[4:5], 0x18
	s_load_dwordx2 s[12:13], s[4:5], 0x38
	v_mul_lo_u16 v2, 0x5a, v3
	v_mov_b32_e32 v175, 4
	s_mov_b32 s20, 0x9b97f4a8
	s_mov_b32 s21, 0x3fe9e377
	;; [unrolled: 1-line block ×3, first 2 shown]
	v_sub_nc_u16 v165, v0, v2
	s_mov_b32 s25, 0xbfe9e377
	s_mov_b32 s24, s20
	v_and_b32_e32 v185, 0xffff, v165
	v_and_b32_e32 v160, 0xff, v165
	v_lshlrev_b32_e32 v128, 4, v185
	v_add_co_u32 v172, null, 0x5a, v185
	s_waitcnt lgkmcnt(0)
	s_load_dwordx4 s[0:3], s[18:19], 0x0
	v_add_co_u32 v173, null, 0xb4, v185
	v_add_nc_u32_e32 v168, 0x168, v185
	v_add_nc_u32_e32 v167, 0x1c2, v185
	v_add_co_u32 v169, null, 0x21c, v185
	v_add_co_u32 v171, null, 0x276, v185
	;; [unrolled: 1-line block ×4, first 2 shown]
	v_and_b32_e32 v176, 0xff, v172
	s_mov_b32 s19, 0xbfe2cf23
	s_waitcnt lgkmcnt(0)
	v_mad_u64_u32 v[4:5], null, s2, v1, 0
	v_add_co_u32 v162, s2, s8, v128
	v_add_co_ci_u32_e64 v187, null, s9, 0, s2
	v_mov_b32_e32 v0, v5
	v_mad_u64_u32 v[2:3], null, s3, v1, v[0:1]
	v_mov_b32_e32 v5, v2
	buffer_store_dword v4, off, s[28:31], 0 ; 4-byte Folded Spill
	buffer_store_dword v5, off, s[28:31], 0 offset:4 ; 4-byte Folded Spill
	global_load_dwordx4 v[10:13], v128, s[8:9]
	s_load_dwordx4 s[4:7], s[16:17], 0x0
	s_mov_b32 s17, 0xbfee6f0e
	s_waitcnt lgkmcnt(0)
	v_mad_u64_u32 v[2:3], null, s6, v1, 0
	s_mul_i32 s2, s5, 0x3840
	s_mul_hi_u32 s3, s4, 0x3840
	s_mul_hi_u32 s6, s4, 0xffff9520
	s_add_i32 s2, s3, s2
	s_mul_i32 s3, s4, 0x3840
	s_sub_i32 s6, s6, s4
	v_mov_b32_e32 v0, v3
	v_mad_u64_u32 v[0:1], null, s7, v1, v[0:1]
	v_mov_b32_e32 v3, v0
	v_mad_u64_u32 v[0:1], null, s4, v185, 0
	s_mulk_i32 s4, 0x9520
	v_mad_u64_u32 v[4:5], null, s5, v185, v[1:2]
	v_lshlrev_b64 v[2:3], 4, v[2:3]
	s_mulk_i32 s5, 0x9520
	s_add_i32 s5, s6, s5
	v_add_co_u32 v166, s6, 0x10e, v185
	v_mov_b32_e32 v1, v4
	v_add_co_u32 v2, vcc_lo, s14, v2
	v_add_co_ci_u32_e32 v3, vcc_lo, s15, v3, vcc_lo
	v_lshlrev_b64 v[0:1], 4, v[0:1]
	v_add_co_ci_u32_e64 v174, null, 0, 0, s6
	s_mov_b32 s14, 0x372fe950
	s_mov_b32 s15, 0x3fd3c6ef
	;; [unrolled: 1-line block ×3, first 2 shown]
	v_add_co_u32 v8, vcc_lo, v2, v0
	v_add_co_ci_u32_e32 v9, vcc_lo, v3, v1, vcc_lo
	global_load_dwordx4 v[0:3], v[8:9], off
	v_add_co_u32 v8, vcc_lo, v8, s3
	v_add_co_ci_u32_e32 v9, vcc_lo, s2, v9, vcc_lo
	s_waitcnt vmcnt(1)
	buffer_store_dword v10, off, s[28:31], 0 offset:40 ; 4-byte Folded Spill
	buffer_store_dword v11, off, s[28:31], 0 offset:44 ; 4-byte Folded Spill
	;; [unrolled: 1-line block ×4, first 2 shown]
	s_waitcnt vmcnt(0)
	v_mul_f64 v[4:5], v[2:3], v[12:13]
	v_fma_f64 v[4:5], v[0:1], v[10:11], v[4:5]
	v_mul_f64 v[0:1], v[0:1], v[12:13]
	v_fma_f64 v[6:7], v[2:3], v[10:11], -v[0:1]
	v_add_co_u32 v10, vcc_lo, 0x3800, v162
	v_add_co_ci_u32_e32 v11, vcc_lo, 0, v187, vcc_lo
	global_load_dwordx4 v[0:3], v[8:9], off
	v_add_co_u32 v8, vcc_lo, v8, s3
	global_load_dwordx4 v[12:15], v[10:11], off offset:64
	v_add_co_ci_u32_e32 v9, vcc_lo, s2, v9, vcc_lo
	ds_write_b128 v128, v[4:7]
	s_waitcnt vmcnt(0)
	buffer_store_dword v12, off, s[28:31], 0 offset:24 ; 4-byte Folded Spill
	buffer_store_dword v13, off, s[28:31], 0 offset:28 ; 4-byte Folded Spill
	;; [unrolled: 1-line block ×4, first 2 shown]
	v_mul_f64 v[4:5], v[2:3], v[14:15]
	v_fma_f64 v[4:5], v[0:1], v[12:13], v[4:5]
	v_mul_f64 v[0:1], v[0:1], v[14:15]
	v_fma_f64 v[6:7], v[2:3], v[12:13], -v[0:1]
	v_add_co_u32 v12, vcc_lo, 0x7000, v162
	v_add_co_ci_u32_e32 v13, vcc_lo, 0, v187, vcc_lo
	global_load_dwordx4 v[0:3], v[8:9], off
	v_add_co_u32 v8, vcc_lo, v8, s4
	global_load_dwordx4 v[14:17], v[12:13], off offset:128
	v_add_co_ci_u32_e32 v9, vcc_lo, s5, v9, vcc_lo
	ds_write_b128 v128, v[4:7] offset:14400
	s_waitcnt vmcnt(0)
	buffer_store_dword v14, off, s[28:31], 0 offset:8 ; 4-byte Folded Spill
	buffer_store_dword v15, off, s[28:31], 0 offset:12 ; 4-byte Folded Spill
	;; [unrolled: 1-line block ×4, first 2 shown]
	v_mul_f64 v[4:5], v[2:3], v[16:17]
	v_fma_f64 v[4:5], v[0:1], v[14:15], v[4:5]
	v_mul_f64 v[0:1], v[0:1], v[16:17]
	v_fma_f64 v[6:7], v[2:3], v[14:15], -v[0:1]
	ds_write_b128 v128, v[4:7] offset:28800
	global_load_dwordx4 v[0:3], v[8:9], off
	global_load_dwordx4 v[14:17], v128, s[8:9] offset:1440
	v_add_co_u32 v8, vcc_lo, v8, s3
	v_add_co_ci_u32_e32 v9, vcc_lo, s2, v9, vcc_lo
	s_mov_b32 s8, 0x4755a5e
	s_mov_b32 s9, 0x3fe2cf23
	;; [unrolled: 1-line block ×3, first 2 shown]
	s_waitcnt vmcnt(0)
	buffer_store_dword v14, off, s[28:31], 0 offset:104 ; 4-byte Folded Spill
	buffer_store_dword v15, off, s[28:31], 0 offset:108 ; 4-byte Folded Spill
	;; [unrolled: 1-line block ×4, first 2 shown]
	v_mul_f64 v[4:5], v[2:3], v[16:17]
	v_fma_f64 v[4:5], v[0:1], v[14:15], v[4:5]
	v_mul_f64 v[0:1], v[0:1], v[16:17]
	v_fma_f64 v[6:7], v[2:3], v[14:15], -v[0:1]
	ds_write_b128 v128, v[4:7] offset:1440
	global_load_dwordx4 v[0:3], v[8:9], off
	global_load_dwordx4 v[14:17], v[10:11], off offset:1504
	v_add_co_u32 v8, vcc_lo, v8, s3
	v_add_co_ci_u32_e32 v9, vcc_lo, s2, v9, vcc_lo
	s_waitcnt vmcnt(0)
	buffer_store_dword v14, off, s[28:31], 0 offset:88 ; 4-byte Folded Spill
	buffer_store_dword v15, off, s[28:31], 0 offset:92 ; 4-byte Folded Spill
	;; [unrolled: 1-line block ×4, first 2 shown]
	v_mul_f64 v[4:5], v[2:3], v[16:17]
	v_fma_f64 v[4:5], v[0:1], v[14:15], v[4:5]
	v_mul_f64 v[0:1], v[0:1], v[16:17]
	v_fma_f64 v[6:7], v[2:3], v[14:15], -v[0:1]
	ds_write_b128 v128, v[4:7] offset:15840
	global_load_dwordx4 v[0:3], v[8:9], off
	global_load_dwordx4 v[10:13], v[12:13], off offset:1568
	v_add_co_u32 v8, vcc_lo, v8, s4
	v_add_co_ci_u32_e32 v9, vcc_lo, s5, v9, vcc_lo
	s_waitcnt vmcnt(0)
	buffer_store_dword v10, off, s[28:31], 0 offset:72 ; 4-byte Folded Spill
	buffer_store_dword v11, off, s[28:31], 0 offset:76 ; 4-byte Folded Spill
	buffer_store_dword v12, off, s[28:31], 0 offset:80 ; 4-byte Folded Spill
	buffer_store_dword v13, off, s[28:31], 0 offset:84 ; 4-byte Folded Spill
	v_mul_f64 v[4:5], v[2:3], v[12:13]
	v_fma_f64 v[4:5], v[0:1], v[10:11], v[4:5]
	v_mul_f64 v[0:1], v[0:1], v[12:13]
	v_fma_f64 v[6:7], v[2:3], v[10:11], -v[0:1]
	global_load_dwordx4 v[0:3], v[8:9], off
	ds_write_b128 v128, v[4:7] offset:30240
	v_add_co_u32 v4, vcc_lo, 0x800, v162
	v_add_co_ci_u32_e32 v5, vcc_lo, 0, v187, vcc_lo
	v_add_co_u32 v8, vcc_lo, v8, s3
	v_add_co_ci_u32_e32 v9, vcc_lo, s2, v9, vcc_lo
	global_load_dwordx4 v[10:13], v[4:5], off offset:832
	s_waitcnt vmcnt(0)
	buffer_store_dword v10, off, s[28:31], 0 offset:120 ; 4-byte Folded Spill
	buffer_store_dword v11, off, s[28:31], 0 offset:124 ; 4-byte Folded Spill
	buffer_store_dword v12, off, s[28:31], 0 offset:128 ; 4-byte Folded Spill
	buffer_store_dword v13, off, s[28:31], 0 offset:132 ; 4-byte Folded Spill
	v_mul_f64 v[4:5], v[2:3], v[12:13]
	v_fma_f64 v[4:5], v[0:1], v[10:11], v[4:5]
	v_mul_f64 v[0:1], v[0:1], v[12:13]
	v_fma_f64 v[6:7], v[2:3], v[10:11], -v[0:1]
	global_load_dwordx4 v[0:3], v[8:9], off
	ds_write_b128 v128, v[4:7] offset:2880
	v_add_co_u32 v4, vcc_lo, 0x4000, v162
	v_add_co_ci_u32_e32 v5, vcc_lo, 0, v187, vcc_lo
	v_add_co_u32 v8, vcc_lo, v8, s3
	v_add_co_ci_u32_e32 v9, vcc_lo, s2, v9, vcc_lo
	global_load_dwordx4 v[10:13], v[4:5], off offset:896
	;; [unrolled: 16-line block ×3, first 2 shown]
	s_waitcnt vmcnt(0)
	buffer_store_dword v10, off, s[28:31], 0 offset:152 ; 4-byte Folded Spill
	buffer_store_dword v11, off, s[28:31], 0 offset:156 ; 4-byte Folded Spill
	buffer_store_dword v12, off, s[28:31], 0 offset:160 ; 4-byte Folded Spill
	buffer_store_dword v13, off, s[28:31], 0 offset:164 ; 4-byte Folded Spill
	v_mul_f64 v[4:5], v[2:3], v[12:13]
	v_fma_f64 v[4:5], v[0:1], v[10:11], v[4:5]
	v_mul_f64 v[0:1], v[0:1], v[12:13]
	v_fma_f64 v[6:7], v[2:3], v[10:11], -v[0:1]
	v_add_co_u32 v10, vcc_lo, 0x1000, v162
	v_add_co_ci_u32_e32 v11, vcc_lo, 0, v187, vcc_lo
	global_load_dwordx4 v[0:3], v[8:9], off
	v_add_co_u32 v8, vcc_lo, v8, s3
	global_load_dwordx4 v[12:15], v[10:11], off offset:224
	v_add_co_ci_u32_e32 v9, vcc_lo, s2, v9, vcc_lo
	ds_write_b128 v128, v[4:7] offset:31680
	s_waitcnt vmcnt(0)
	buffer_store_dword v12, off, s[28:31], 0 offset:168 ; 4-byte Folded Spill
	buffer_store_dword v13, off, s[28:31], 0 offset:172 ; 4-byte Folded Spill
	buffer_store_dword v14, off, s[28:31], 0 offset:176 ; 4-byte Folded Spill
	buffer_store_dword v15, off, s[28:31], 0 offset:180 ; 4-byte Folded Spill
	v_mul_f64 v[4:5], v[2:3], v[14:15]
	v_fma_f64 v[4:5], v[0:1], v[12:13], v[4:5]
	v_mul_f64 v[0:1], v[0:1], v[14:15]
	v_fma_f64 v[6:7], v[2:3], v[12:13], -v[0:1]
	v_add_co_u32 v12, vcc_lo, 0x4800, v162
	v_add_co_ci_u32_e32 v13, vcc_lo, 0, v187, vcc_lo
	global_load_dwordx4 v[0:3], v[8:9], off
	v_add_co_u32 v8, vcc_lo, v8, s3
	global_load_dwordx4 v[14:17], v[12:13], off offset:288
	v_add_co_ci_u32_e32 v9, vcc_lo, s2, v9, vcc_lo
	ds_write_b128 v128, v[4:7] offset:4320
	;; [unrolled: 16-line block ×3, first 2 shown]
	s_waitcnt vmcnt(0)
	buffer_store_dword v16, off, s[28:31], 0 offset:232 ; 4-byte Folded Spill
	buffer_store_dword v17, off, s[28:31], 0 offset:236 ; 4-byte Folded Spill
	buffer_store_dword v18, off, s[28:31], 0 offset:240 ; 4-byte Folded Spill
	buffer_store_dword v19, off, s[28:31], 0 offset:244 ; 4-byte Folded Spill
	v_mul_f64 v[4:5], v[2:3], v[18:19]
	v_fma_f64 v[4:5], v[0:1], v[16:17], v[4:5]
	v_mul_f64 v[0:1], v[0:1], v[18:19]
	v_fma_f64 v[6:7], v[2:3], v[16:17], -v[0:1]
	ds_write_b128 v128, v[4:7] offset:33120
	global_load_dwordx4 v[0:3], v[8:9], off
	global_load_dwordx4 v[16:19], v[10:11], off offset:1664
	v_add_co_u32 v8, vcc_lo, v8, s3
	v_add_co_ci_u32_e32 v9, vcc_lo, s2, v9, vcc_lo
	s_waitcnt vmcnt(0)
	buffer_store_dword v16, off, s[28:31], 0 offset:248 ; 4-byte Folded Spill
	buffer_store_dword v17, off, s[28:31], 0 offset:252 ; 4-byte Folded Spill
	buffer_store_dword v18, off, s[28:31], 0 offset:256 ; 4-byte Folded Spill
	buffer_store_dword v19, off, s[28:31], 0 offset:260 ; 4-byte Folded Spill
	v_mul_f64 v[4:5], v[2:3], v[18:19]
	v_fma_f64 v[4:5], v[0:1], v[16:17], v[4:5]
	v_mul_f64 v[0:1], v[0:1], v[18:19]
	v_fma_f64 v[6:7], v[2:3], v[16:17], -v[0:1]
	ds_write_b128 v128, v[4:7] offset:5760
	global_load_dwordx4 v[0:3], v[8:9], off
	global_load_dwordx4 v[10:13], v[12:13], off offset:1728
	v_add_co_u32 v8, vcc_lo, v8, s3
	v_add_co_ci_u32_e32 v9, vcc_lo, s2, v9, vcc_lo
	;; [unrolled: 14-line block ×3, first 2 shown]
	s_waitcnt vmcnt(0)
	buffer_store_dword v10, off, s[28:31], 0 offset:200 ; 4-byte Folded Spill
	buffer_store_dword v11, off, s[28:31], 0 offset:204 ; 4-byte Folded Spill
	buffer_store_dword v12, off, s[28:31], 0 offset:208 ; 4-byte Folded Spill
	buffer_store_dword v13, off, s[28:31], 0 offset:212 ; 4-byte Folded Spill
	v_mul_f64 v[4:5], v[2:3], v[12:13]
	v_fma_f64 v[4:5], v[0:1], v[10:11], v[4:5]
	v_mul_f64 v[0:1], v[0:1], v[12:13]
	v_fma_f64 v[6:7], v[2:3], v[10:11], -v[0:1]
	global_load_dwordx4 v[0:3], v[8:9], off
	ds_write_b128 v128, v[4:7] offset:34560
	v_add_co_u32 v4, vcc_lo, 0x1800, v162
	v_add_co_ci_u32_e32 v5, vcc_lo, 0, v187, vcc_lo
	v_add_co_u32 v8, vcc_lo, v8, s3
	v_add_co_ci_u32_e32 v9, vcc_lo, s2, v9, vcc_lo
	global_load_dwordx4 v[10:13], v[4:5], off offset:1056
	s_waitcnt vmcnt(0)
	buffer_store_dword v10, off, s[28:31], 0 offset:264 ; 4-byte Folded Spill
	buffer_store_dword v11, off, s[28:31], 0 offset:268 ; 4-byte Folded Spill
	buffer_store_dword v12, off, s[28:31], 0 offset:272 ; 4-byte Folded Spill
	buffer_store_dword v13, off, s[28:31], 0 offset:276 ; 4-byte Folded Spill
	v_mul_f64 v[4:5], v[2:3], v[12:13]
	v_fma_f64 v[4:5], v[0:1], v[10:11], v[4:5]
	v_mul_f64 v[0:1], v[0:1], v[12:13]
	v_fma_f64 v[6:7], v[2:3], v[10:11], -v[0:1]
	global_load_dwordx4 v[0:3], v[8:9], off
	ds_write_b128 v128, v[4:7] offset:7200
	v_add_co_u32 v4, vcc_lo, 0x5000, v162
	v_add_co_ci_u32_e32 v5, vcc_lo, 0, v187, vcc_lo
	v_add_co_u32 v8, vcc_lo, v8, s3
	v_add_co_ci_u32_e32 v9, vcc_lo, s2, v9, vcc_lo
	global_load_dwordx4 v[10:13], v[4:5], off offset:1120
	;; [unrolled: 16-line block ×3, first 2 shown]
	s_waitcnt vmcnt(0)
	buffer_store_dword v10, off, s[28:31], 0 offset:296 ; 4-byte Folded Spill
	buffer_store_dword v11, off, s[28:31], 0 offset:300 ; 4-byte Folded Spill
	buffer_store_dword v12, off, s[28:31], 0 offset:304 ; 4-byte Folded Spill
	buffer_store_dword v13, off, s[28:31], 0 offset:308 ; 4-byte Folded Spill
	v_mul_f64 v[4:5], v[2:3], v[12:13]
	v_fma_f64 v[4:5], v[0:1], v[10:11], v[4:5]
	v_mul_f64 v[0:1], v[0:1], v[12:13]
	v_fma_f64 v[6:7], v[2:3], v[10:11], -v[0:1]
	v_add_co_u32 v10, vcc_lo, 0x2000, v162
	v_add_co_ci_u32_e32 v11, vcc_lo, 0, v187, vcc_lo
	global_load_dwordx4 v[0:3], v[8:9], off
	v_add_co_u32 v8, vcc_lo, v8, s3
	global_load_dwordx4 v[12:15], v[10:11], off offset:448
	v_add_co_ci_u32_e32 v9, vcc_lo, s2, v9, vcc_lo
	ds_write_b128 v128, v[4:7] offset:36000
	s_waitcnt vmcnt(0)
	buffer_store_dword v12, off, s[28:31], 0 offset:312 ; 4-byte Folded Spill
	buffer_store_dword v13, off, s[28:31], 0 offset:316 ; 4-byte Folded Spill
	buffer_store_dword v14, off, s[28:31], 0 offset:320 ; 4-byte Folded Spill
	buffer_store_dword v15, off, s[28:31], 0 offset:324 ; 4-byte Folded Spill
	v_mul_f64 v[4:5], v[2:3], v[14:15]
	v_fma_f64 v[4:5], v[0:1], v[12:13], v[4:5]
	v_mul_f64 v[0:1], v[0:1], v[14:15]
	v_fma_f64 v[6:7], v[2:3], v[12:13], -v[0:1]
	v_add_co_u32 v12, vcc_lo, 0x5800, v162
	v_add_co_ci_u32_e32 v13, vcc_lo, 0, v187, vcc_lo
	global_load_dwordx4 v[0:3], v[8:9], off
	v_add_co_u32 v8, vcc_lo, v8, s3
	global_load_dwordx4 v[14:17], v[12:13], off offset:512
	v_add_co_ci_u32_e32 v9, vcc_lo, s2, v9, vcc_lo
	ds_write_b128 v128, v[4:7] offset:8640
	;; [unrolled: 16-line block ×3, first 2 shown]
	s_waitcnt vmcnt(0)
	buffer_store_dword v16, off, s[28:31], 0 offset:376 ; 4-byte Folded Spill
	buffer_store_dword v17, off, s[28:31], 0 offset:380 ; 4-byte Folded Spill
	buffer_store_dword v18, off, s[28:31], 0 offset:384 ; 4-byte Folded Spill
	buffer_store_dword v19, off, s[28:31], 0 offset:388 ; 4-byte Folded Spill
	v_mul_f64 v[4:5], v[2:3], v[18:19]
	v_fma_f64 v[4:5], v[0:1], v[16:17], v[4:5]
	v_mul_f64 v[0:1], v[0:1], v[18:19]
	v_fma_f64 v[6:7], v[2:3], v[16:17], -v[0:1]
	ds_write_b128 v128, v[4:7] offset:37440
	global_load_dwordx4 v[0:3], v[8:9], off
	global_load_dwordx4 v[16:19], v[10:11], off offset:1888
	v_add_co_u32 v8, vcc_lo, v8, s3
	v_add_co_ci_u32_e32 v9, vcc_lo, s2, v9, vcc_lo
	s_waitcnt vmcnt(0)
	buffer_store_dword v16, off, s[28:31], 0 offset:392 ; 4-byte Folded Spill
	buffer_store_dword v17, off, s[28:31], 0 offset:396 ; 4-byte Folded Spill
	buffer_store_dword v18, off, s[28:31], 0 offset:400 ; 4-byte Folded Spill
	buffer_store_dword v19, off, s[28:31], 0 offset:404 ; 4-byte Folded Spill
	v_mul_f64 v[4:5], v[2:3], v[18:19]
	v_fma_f64 v[4:5], v[0:1], v[16:17], v[4:5]
	v_mul_f64 v[0:1], v[0:1], v[18:19]
	v_fma_f64 v[6:7], v[2:3], v[16:17], -v[0:1]
	ds_write_b128 v128, v[4:7] offset:10080
	global_load_dwordx4 v[0:3], v[8:9], off
	global_load_dwordx4 v[10:13], v[12:13], off offset:1952
	v_add_co_u32 v8, vcc_lo, v8, s3
	v_add_co_ci_u32_e32 v9, vcc_lo, s2, v9, vcc_lo
	;; [unrolled: 14-line block ×3, first 2 shown]
	s_waitcnt vmcnt(0)
	buffer_store_dword v10, off, s[28:31], 0 offset:344 ; 4-byte Folded Spill
	buffer_store_dword v11, off, s[28:31], 0 offset:348 ; 4-byte Folded Spill
	buffer_store_dword v12, off, s[28:31], 0 offset:352 ; 4-byte Folded Spill
	buffer_store_dword v13, off, s[28:31], 0 offset:356 ; 4-byte Folded Spill
	v_mul_f64 v[4:5], v[2:3], v[12:13]
	v_fma_f64 v[4:5], v[0:1], v[10:11], v[4:5]
	v_mul_f64 v[0:1], v[0:1], v[12:13]
	v_fma_f64 v[6:7], v[2:3], v[10:11], -v[0:1]
	global_load_dwordx4 v[0:3], v[8:9], off
	ds_write_b128 v128, v[4:7] offset:38880
	v_add_co_u32 v4, vcc_lo, 0x2800, v162
	v_add_co_ci_u32_e32 v5, vcc_lo, 0, v187, vcc_lo
	v_add_co_u32 v8, vcc_lo, v8, s3
	v_add_co_ci_u32_e32 v9, vcc_lo, s2, v9, vcc_lo
	global_load_dwordx4 v[10:13], v[4:5], off offset:1280
	s_waitcnt vmcnt(0)
	buffer_store_dword v10, off, s[28:31], 0 offset:408 ; 4-byte Folded Spill
	buffer_store_dword v11, off, s[28:31], 0 offset:412 ; 4-byte Folded Spill
	buffer_store_dword v12, off, s[28:31], 0 offset:416 ; 4-byte Folded Spill
	buffer_store_dword v13, off, s[28:31], 0 offset:420 ; 4-byte Folded Spill
	v_mul_f64 v[4:5], v[2:3], v[12:13]
	v_fma_f64 v[4:5], v[0:1], v[10:11], v[4:5]
	v_mul_f64 v[0:1], v[0:1], v[12:13]
	v_fma_f64 v[6:7], v[2:3], v[10:11], -v[0:1]
	global_load_dwordx4 v[0:3], v[8:9], off
	ds_write_b128 v128, v[4:7] offset:11520
	v_add_co_u32 v4, vcc_lo, 0x6000, v162
	v_add_co_ci_u32_e32 v5, vcc_lo, 0, v187, vcc_lo
	v_add_co_u32 v8, vcc_lo, v8, s3
	v_add_co_ci_u32_e32 v9, vcc_lo, s2, v9, vcc_lo
	global_load_dwordx4 v[10:13], v[4:5], off offset:1344
	;; [unrolled: 16-line block ×3, first 2 shown]
	s_mov_b32 s4, 0xe8584caa
	s_mov_b32 s5, 0x3febb67a
	s_waitcnt vmcnt(0)
	buffer_store_dword v10, off, s[28:31], 0 offset:440 ; 4-byte Folded Spill
	buffer_store_dword v11, off, s[28:31], 0 offset:444 ; 4-byte Folded Spill
	;; [unrolled: 1-line block ×4, first 2 shown]
	v_mul_f64 v[4:5], v[2:3], v[12:13]
	v_fma_f64 v[4:5], v[0:1], v[10:11], v[4:5]
	v_mul_f64 v[0:1], v[0:1], v[12:13]
	v_fma_f64 v[6:7], v[2:3], v[10:11], -v[0:1]
	global_load_dwordx4 v[0:3], v[8:9], off
	ds_write_b128 v128, v[4:7] offset:40320
	v_add_co_u32 v4, vcc_lo, 0x3000, v162
	v_add_co_ci_u32_e32 v5, vcc_lo, 0, v187, vcc_lo
	v_add_co_u32 v8, vcc_lo, v8, s3
	v_add_co_ci_u32_e32 v9, vcc_lo, s2, v9, vcc_lo
	global_load_dwordx4 v[10:13], v[4:5], off offset:672
	s_waitcnt vmcnt(0)
	buffer_store_dword v10, off, s[28:31], 0 offset:456 ; 4-byte Folded Spill
	buffer_store_dword v11, off, s[28:31], 0 offset:460 ; 4-byte Folded Spill
	;; [unrolled: 1-line block ×4, first 2 shown]
	v_mul_f64 v[4:5], v[2:3], v[12:13]
	v_fma_f64 v[4:5], v[0:1], v[10:11], v[4:5]
	v_mul_f64 v[0:1], v[0:1], v[12:13]
	v_fma_f64 v[6:7], v[2:3], v[10:11], -v[0:1]
	global_load_dwordx4 v[0:3], v[8:9], off
	ds_write_b128 v128, v[4:7] offset:12960
	v_add_co_u32 v4, vcc_lo, 0x6800, v162
	v_add_co_ci_u32_e32 v5, vcc_lo, 0, v187, vcc_lo
	global_load_dwordx4 v[10:13], v[4:5], off offset:736
	s_waitcnt vmcnt(0)
	buffer_store_dword v10, off, s[28:31], 0 offset:472 ; 4-byte Folded Spill
	buffer_store_dword v11, off, s[28:31], 0 offset:476 ; 4-byte Folded Spill
	;; [unrolled: 1-line block ×4, first 2 shown]
	v_mul_f64 v[4:5], v[2:3], v[12:13]
	v_fma_f64 v[4:5], v[0:1], v[10:11], v[4:5]
	v_mul_f64 v[0:1], v[0:1], v[12:13]
	v_fma_f64 v[6:7], v[2:3], v[10:11], -v[0:1]
	v_add_co_u32 v0, vcc_lo, v8, s3
	v_add_co_ci_u32_e32 v1, vcc_lo, s2, v9, vcc_lo
	s_mov_b32 s3, 0xbfebb67a
	s_mov_b32 s2, s4
	global_load_dwordx4 v[0:3], v[0:1], off
	ds_write_b128 v128, v[4:7] offset:27360
	v_add_co_u32 v4, vcc_lo, 0xa000, v162
	v_add_co_ci_u32_e32 v5, vcc_lo, 0, v187, vcc_lo
	global_load_dwordx4 v[4:7], v[4:5], off offset:800
	s_waitcnt vmcnt(0)
	v_mov_b32_e32 v9, v7
	v_mov_b32_e32 v8, v6
	;; [unrolled: 1-line block ×4, first 2 shown]
	v_mul_f64 v[4:5], v[2:3], v[8:9]
	v_fma_f64 v[4:5], v[0:1], v[6:7], v[4:5]
	v_mul_f64 v[0:1], v[0:1], v[8:9]
	buffer_store_dword v6, off, s[28:31], 0 offset:56 ; 4-byte Folded Spill
	buffer_store_dword v7, off, s[28:31], 0 offset:60 ; 4-byte Folded Spill
	;; [unrolled: 1-line block ×4, first 2 shown]
	v_fma_f64 v[6:7], v[2:3], v[6:7], -v[0:1]
	ds_write_b128 v128, v[4:7] offset:41760
	s_waitcnt lgkmcnt(0)
	s_waitcnt_vscnt null, 0x0
	s_barrier
	buffer_gl0_inv
	ds_read_b128 v[40:43], v128
	ds_read_b128 v[60:63], v128 offset:14400
	ds_read_b128 v[64:67], v128 offset:28800
	;; [unrolled: 1-line block ×29, first 2 shown]
	s_waitcnt lgkmcnt(27)
	v_add_f64 v[38:39], v[60:61], v[64:65]
	v_add_f64 v[44:45], v[62:63], -v[66:67]
	v_add_f64 v[36:37], v[40:41], v[60:61]
	v_add_f64 v[46:47], v[62:63], v[66:67]
	v_add_f64 v[60:61], v[60:61], -v[64:65]
	s_waitcnt lgkmcnt(18)
	v_add_f64 v[98:99], v[120:121], v[124:125]
	s_waitcnt lgkmcnt(0)
	s_barrier
	buffer_gl0_inv
	v_fma_f64 v[38:39], v[38:39], -0.5, v[40:41]
	v_add_f64 v[36:37], v[36:37], v[64:65]
	v_fma_f64 v[46:47], v[46:47], -0.5, v[42:43]
	v_add_f64 v[64:65], v[86:87], -v[131:132]
	v_fma_f64 v[98:99], v[98:99], -0.5, v[100:101]
	v_fma_f64 v[40:41], v[44:45], s[4:5], v[38:39]
	v_fma_f64 v[44:45], v[44:45], s[2:3], v[38:39]
	v_add_f64 v[38:39], v[42:43], v[62:63]
	v_add_f64 v[62:63], v[84:85], v[129:130]
	v_fma_f64 v[42:43], v[60:61], s[2:3], v[46:47]
	v_fma_f64 v[46:47], v[60:61], s[4:5], v[46:47]
	v_add_f64 v[60:61], v[68:69], v[84:85]
	v_add_f64 v[84:85], v[84:85], -v[129:130]
	v_add_f64 v[38:39], v[38:39], v[66:67]
	v_fma_f64 v[62:63], v[62:63], -0.5, v[68:69]
	v_add_f64 v[66:67], v[86:87], v[131:132]
	v_add_f64 v[60:61], v[60:61], v[129:130]
	v_fma_f64 v[68:69], v[64:65], s[4:5], v[62:63]
	v_fma_f64 v[64:65], v[64:65], s[2:3], v[62:63]
	v_add_f64 v[62:63], v[70:71], v[86:87]
	v_fma_f64 v[66:67], v[66:67], -0.5, v[70:71]
	v_add_f64 v[86:87], v[94:95], v[104:105]
	v_add_f64 v[62:63], v[62:63], v[131:132]
	v_fma_f64 v[70:71], v[84:85], s[2:3], v[66:67]
	v_fma_f64 v[66:67], v[84:85], s[4:5], v[66:67]
	v_add_f64 v[84:85], v[88:89], v[94:95]
	v_fma_f64 v[86:87], v[86:87], -0.5, v[88:89]
	v_add_f64 v[88:89], v[96:97], -v[106:107]
	v_add_f64 v[84:85], v[84:85], v[104:105]
	v_fma_f64 v[92:93], v[88:89], s[4:5], v[86:87]
	v_fma_f64 v[88:89], v[88:89], s[2:3], v[86:87]
	v_add_f64 v[86:87], v[90:91], v[96:97]
	v_add_f64 v[96:97], v[96:97], v[106:107]
	;; [unrolled: 1-line block ×3, first 2 shown]
	v_fma_f64 v[90:91], v[96:97], -0.5, v[90:91]
	v_add_f64 v[96:97], v[94:95], -v[104:105]
	v_add_f64 v[106:107], v[122:123], v[126:127]
	v_fma_f64 v[94:95], v[96:97], s[2:3], v[90:91]
	v_fma_f64 v[90:91], v[96:97], s[4:5], v[90:91]
	v_add_f64 v[96:97], v[100:101], v[120:121]
	v_add_f64 v[100:101], v[122:123], -v[126:127]
	v_add_f64 v[120:121], v[120:121], -v[124:125]
	v_add_f64 v[96:97], v[96:97], v[124:125]
	v_fma_f64 v[104:105], v[100:101], s[4:5], v[98:99]
	v_fma_f64 v[100:101], v[100:101], s[2:3], v[98:99]
	v_add_f64 v[98:99], v[102:103], v[122:123]
	v_fma_f64 v[102:103], v[106:107], -0.5, v[102:103]
	v_add_f64 v[122:123], v[112:113], v[116:117]
	v_add_f64 v[98:99], v[98:99], v[126:127]
	v_fma_f64 v[106:107], v[120:121], s[2:3], v[102:103]
	v_fma_f64 v[102:103], v[120:121], s[4:5], v[102:103]
	v_add_f64 v[120:121], v[108:109], v[112:113]
	v_fma_f64 v[108:109], v[122:123], -0.5, v[108:109]
	v_add_f64 v[122:123], v[114:115], -v[118:119]
	v_add_f64 v[112:113], v[112:113], -v[116:117]
	v_add_f64 v[120:121], v[120:121], v[116:117]
	v_fma_f64 v[124:125], v[122:123], s[4:5], v[108:109]
	v_fma_f64 v[108:109], v[122:123], s[2:3], v[108:109]
	v_add_f64 v[122:123], v[110:111], v[114:115]
	v_add_f64 v[114:115], v[114:115], v[118:119]
	;; [unrolled: 1-line block ×3, first 2 shown]
	v_fma_f64 v[110:111], v[114:115], -0.5, v[110:111]
	v_add_f64 v[114:115], v[72:73], v[76:77]
	v_fma_f64 v[126:127], v[112:113], s[2:3], v[110:111]
	v_fma_f64 v[110:111], v[112:113], s[4:5], v[110:111]
	v_add_f64 v[112:113], v[80:81], v[72:73]
	v_fma_f64 v[80:81], v[114:115], -0.5, v[80:81]
	v_add_f64 v[114:115], v[74:75], -v[78:79]
	v_add_f64 v[72:73], v[72:73], -v[76:77]
	v_add_f64 v[112:113], v[112:113], v[76:77]
	v_add_f64 v[76:77], v[50:51], -v[54:55]
	v_fma_f64 v[116:117], v[114:115], s[4:5], v[80:81]
	v_fma_f64 v[80:81], v[114:115], s[2:3], v[80:81]
	v_add_f64 v[114:115], v[82:83], v[74:75]
	v_add_f64 v[74:75], v[74:75], v[78:79]
	v_add_f64 v[114:115], v[114:115], v[78:79]
	v_fma_f64 v[74:75], v[74:75], -0.5, v[82:83]
	v_fma_f64 v[118:119], v[72:73], s[2:3], v[74:75]
	v_fma_f64 v[82:83], v[72:73], s[4:5], v[74:75]
	v_add_f64 v[74:75], v[48:49], v[52:53]
	v_add_f64 v[72:73], v[56:57], v[48:49]
	v_add_f64 v[48:49], v[48:49], -v[52:53]
	v_fma_f64 v[74:75], v[74:75], -0.5, v[56:57]
	v_add_f64 v[72:73], v[72:73], v[52:53]
	v_add_f64 v[52:53], v[26:27], -v[30:31]
	v_fma_f64 v[56:57], v[76:77], s[4:5], v[74:75]
	v_fma_f64 v[76:77], v[76:77], s[2:3], v[74:75]
	v_add_f64 v[74:75], v[58:59], v[50:51]
	v_add_f64 v[50:51], v[50:51], v[54:55]
	v_add_f64 v[74:75], v[74:75], v[54:55]
	v_fma_f64 v[50:51], v[50:51], -0.5, v[58:59]
	v_fma_f64 v[58:59], v[48:49], s[2:3], v[50:51]
	v_fma_f64 v[78:79], v[48:49], s[4:5], v[50:51]
	v_add_f64 v[50:51], v[24:25], v[28:29]
	v_add_f64 v[48:49], v[32:33], v[24:25]
	v_add_f64 v[24:25], v[24:25], -v[28:29]
	v_fma_f64 v[50:51], v[50:51], -0.5, v[32:33]
	;; [unrolled: 14-line block ×4, first 2 shown]
	v_add_f64 v[12:13], v[12:13], v[4:5]
	v_fma_f64 v[8:9], v[16:17], s[4:5], v[14:15]
	v_fma_f64 v[16:17], v[16:17], s[2:3], v[14:15]
	v_add_f64 v[14:15], v[10:11], v[2:3]
	v_add_f64 v[2:3], v[2:3], v[6:7]
	;; [unrolled: 1-line block ×3, first 2 shown]
	v_fma_f64 v[2:3], v[2:3], -0.5, v[10:11]
	v_fma_f64 v[10:11], v[0:1], s[2:3], v[2:3]
	v_fma_f64 v[18:19], v[0:1], s[4:5], v[2:3]
	v_mul_lo_u16 v0, v165, 3
	v_lshlrev_b32_sdwa v0, v175, v0 dst_sel:DWORD dst_unused:UNUSED_PAD src0_sel:DWORD src1_sel:WORD_0
	buffer_store_dword v0, off, s[28:31], 0 offset:520 ; 4-byte Folded Spill
	ds_write_b128 v0, v[36:39]
	ds_write_b128 v0, v[40:43] offset:16
	ds_write_b128 v0, v[44:47] offset:32
	v_mul_u32_u24_e32 v0, 3, v172
	v_lshlrev_b32_e32 v0, 4, v0
	buffer_store_dword v0, off, s[28:31], 0 offset:516 ; 4-byte Folded Spill
	ds_write_b128 v0, v[60:63]
	ds_write_b128 v0, v[68:71] offset:16
	ds_write_b128 v0, v[64:67] offset:32
	v_mul_u32_u24_e32 v0, 3, v173
	v_lshlrev_b32_e32 v0, 4, v0
	;; [unrolled: 6-line block ×4, first 2 shown]
	buffer_store_dword v0, off, s[28:31], 0 offset:504 ; 4-byte Folded Spill
	ds_write_b128 v0, v[120:123]
	ds_write_b128 v0, v[124:127] offset:16
	ds_write_b128 v0, v[108:111] offset:32
	v_mul_u32_u24_e32 v0, 3, v167
	v_mul_lo_u16 v120, 0xab, v160
	v_lshlrev_b32_e32 v0, 4, v0
	v_lshrrev_b16 v161, 9, v120
	buffer_store_dword v0, off, s[28:31], 0 offset:500 ; 4-byte Folded Spill
	ds_write_b128 v0, v[112:115]
	ds_write_b128 v0, v[116:119] offset:16
	ds_write_b128 v0, v[80:83] offset:32
	v_mul_u32_u24_e32 v0, 3, v169
	v_mul_lo_u16 v120, v161, 3
	v_lshlrev_b32_e32 v0, 4, v0
	v_sub_nc_u16 v120, v165, v120
	buffer_store_dword v0, off, s[28:31], 0 offset:496 ; 4-byte Folded Spill
	ds_write_b128 v0, v[72:75]
	ds_write_b128 v0, v[56:59] offset:16
	ds_write_b128 v0, v[76:79] offset:32
	v_mul_u32_u24_e32 v0, 3, v171
	v_and_b32_e32 v163, 0xff, v120
	v_lshlrev_b32_e32 v0, 4, v0
	v_mad_u64_u32 v[120:121], null, 0x90, v163, s[10:11]
	buffer_store_dword v0, off, s[28:31], 0 offset:492 ; 4-byte Folded Spill
	ds_write_b128 v0, v[48:51]
	ds_write_b128 v0, v[32:35] offset:16
	ds_write_b128 v0, v[52:55] offset:32
	v_mul_u32_u24_e32 v0, 3, v170
	v_lshlrev_b32_e32 v0, 4, v0
	buffer_store_dword v0, off, s[28:31], 0 offset:488 ; 4-byte Folded Spill
	ds_write_b128 v0, v[24:27]
	ds_write_b128 v0, v[20:23] offset:16
	ds_write_b128 v0, v[28:31] offset:32
	v_mul_u32_u24_e32 v0, 3, v182
	v_lshlrev_b32_e32 v183, 4, v0
	ds_write_b128 v183, v[12:15]
	ds_write_b128 v183, v[8:11] offset:16
	ds_write_b128 v183, v[16:19] offset:32
	s_waitcnt lgkmcnt(0)
	s_waitcnt_vscnt null, 0x0
	s_barrier
	buffer_gl0_inv
	ds_read_b128 v[4:7], v128
	ds_read_b128 v[116:119], v128 offset:4320
	ds_read_b128 v[112:115], v128 offset:8640
	;; [unrolled: 1-line block ×29, first 2 shown]
	s_clause 0x3
	global_load_dwordx4 v[129:132], v[120:121], off offset:48
	global_load_dwordx4 v[124:127], v[120:121], off offset:32
	;; [unrolled: 1-line block ×3, first 2 shown]
	global_load_dwordx4 v[140:143], v[120:121], off
	s_waitcnt vmcnt(0)
	buffer_store_dword v140, off, s[28:31], 0 offset:572 ; 4-byte Folded Spill
	buffer_store_dword v141, off, s[28:31], 0 offset:576 ; 4-byte Folded Spill
	;; [unrolled: 1-line block ×8, first 2 shown]
	s_waitcnt lgkmcnt(28)
	v_mul_f64 v[122:123], v[118:119], v[142:143]
	v_fma_f64 v[158:159], v[116:117], v[140:141], -v[122:123]
	v_mul_f64 v[116:117], v[116:117], v[142:143]
	v_fma_f64 v[122:123], v[118:119], v[140:141], v[116:117]
	s_waitcnt lgkmcnt(27)
	v_mul_f64 v[116:117], v[114:115], v[138:139]
	v_fma_f64 v[144:145], v[112:113], v[136:137], -v[116:117]
	v_mul_f64 v[112:113], v[112:113], v[138:139]
	v_fma_f64 v[134:135], v[114:115], v[136:137], v[112:113]
	v_mov_b32_e32 v114, v124
	v_mov_b32_e32 v115, v125
	;; [unrolled: 1-line block ×4, first 2 shown]
	buffer_store_dword v114, off, s[28:31], 0 offset:540 ; 4-byte Folded Spill
	buffer_store_dword v115, off, s[28:31], 0 offset:544 ; 4-byte Folded Spill
	;; [unrolled: 1-line block ×8, first 2 shown]
	s_waitcnt lgkmcnt(26)
	v_mul_f64 v[112:113], v[110:111], v[116:117]
	v_fma_f64 v[126:127], v[108:109], v[114:115], -v[112:113]
	v_mul_f64 v[108:109], v[108:109], v[116:117]
	v_fma_f64 v[124:125], v[110:111], v[114:115], v[108:109]
	s_waitcnt lgkmcnt(25)
	v_mul_f64 v[108:109], v[106:107], v[131:132]
	v_fma_f64 v[146:147], v[104:105], v[129:130], -v[108:109]
	v_mul_f64 v[104:105], v[104:105], v[131:132]
	v_fma_f64 v[136:137], v[106:107], v[129:130], v[104:105]
	s_clause 0x3
	global_load_dwordx4 v[106:109], v[120:121], off offset:112
	global_load_dwordx4 v[110:113], v[120:121], off offset:96
	;; [unrolled: 1-line block ×4, first 2 shown]
	s_waitcnt vmcnt(0) lgkmcnt(24)
	v_mul_f64 v[104:105], v[102:103], v[140:141]
	v_fma_f64 v[132:133], v[100:101], v[138:139], -v[104:105]
	buffer_store_dword v138, off, s[28:31], 0 offset:588 ; 4-byte Folded Spill
	buffer_store_dword v139, off, s[28:31], 0 offset:592 ; 4-byte Folded Spill
	;; [unrolled: 1-line block ×8, first 2 shown]
	v_mul_f64 v[100:101], v[100:101], v[140:141]
	v_fma_f64 v[130:131], v[102:103], v[138:139], v[100:101]
	s_waitcnt lgkmcnt(23)
	v_mul_f64 v[100:101], v[98:99], v[116:117]
	v_fma_f64 v[154:155], v[96:97], v[114:115], -v[100:101]
	v_mul_f64 v[96:97], v[96:97], v[116:117]
	v_fma_f64 v[150:151], v[98:99], v[114:115], v[96:97]
	s_waitcnt lgkmcnt(22)
	v_mul_f64 v[96:97], v[94:95], v[112:113]
	v_fma_f64 v[138:139], v[92:93], v[110:111], -v[96:97]
	v_mul_f64 v[92:93], v[92:93], v[112:113]
	buffer_store_dword v110, off, s[28:31], 0 offset:652 ; 4-byte Folded Spill
	buffer_store_dword v111, off, s[28:31], 0 offset:656 ; 4-byte Folded Spill
	;; [unrolled: 1-line block ×8, first 2 shown]
	v_fma_f64 v[140:141], v[94:95], v[110:111], v[92:93]
	s_waitcnt lgkmcnt(21)
	v_mul_f64 v[92:93], v[90:91], v[108:109]
	v_fma_f64 v[156:157], v[88:89], v[106:107], -v[92:93]
	v_mul_f64 v[88:89], v[88:89], v[108:109]
	v_fma_f64 v[152:153], v[90:91], v[106:107], v[88:89]
	global_load_dwordx4 v[90:93], v[120:121], off offset:128
	s_waitcnt vmcnt(0)
	buffer_store_dword v90, off, s[28:31], 0 offset:620 ; 4-byte Folded Spill
	buffer_store_dword v91, off, s[28:31], 0 offset:624 ; 4-byte Folded Spill
	;; [unrolled: 1-line block ×4, first 2 shown]
	s_waitcnt lgkmcnt(20)
	v_mul_f64 v[88:89], v[86:87], v[92:93]
	v_fma_f64 v[148:149], v[84:85], v[90:91], -v[88:89]
	v_mul_f64 v[84:85], v[84:85], v[92:93]
	v_fma_f64 v[142:143], v[86:87], v[90:91], v[84:85]
	v_mul_lo_u16 v84, 0xab, v176
	v_lshrrev_b16 v164, 9, v84
	v_mul_lo_u16 v84, v164, 3
	v_sub_nc_u16 v84, v172, v84
	v_and_b32_e32 v177, 0xff, v84
	v_mad_u64_u32 v[84:85], null, 0x90, v177, s[10:11]
	s_clause 0x3
	global_load_dwordx4 v[88:91], v[84:85], off offset:48
	global_load_dwordx4 v[92:95], v[84:85], off offset:32
	;; [unrolled: 1-line block ×3, first 2 shown]
	global_load_dwordx4 v[100:103], v[84:85], off
	s_waitcnt vmcnt(0) lgkmcnt(18)
	v_mul_f64 v[86:87], v[82:83], v[102:103]
	v_fma_f64 v[120:121], v[80:81], v[100:101], -v[86:87]
	buffer_store_dword v100, off, s[28:31], 0 offset:668 ; 4-byte Folded Spill
	buffer_store_dword v101, off, s[28:31], 0 offset:672 ; 4-byte Folded Spill
	;; [unrolled: 1-line block ×16, first 2 shown]
	v_mul_f64 v[80:81], v[80:81], v[102:103]
	v_fma_f64 v[80:81], v[82:83], v[100:101], v[80:81]
	s_waitcnt lgkmcnt(17)
	v_mul_f64 v[82:83], v[78:79], v[98:99]
	v_fma_f64 v[82:83], v[76:77], v[96:97], -v[82:83]
	v_mul_f64 v[76:77], v[76:77], v[98:99]
	v_fma_f64 v[78:79], v[78:79], v[96:97], v[76:77]
	s_waitcnt lgkmcnt(16)
	v_mul_f64 v[76:77], v[74:75], v[94:95]
	v_fma_f64 v[76:77], v[72:73], v[92:93], -v[76:77]
	;; [unrolled: 5-line block ×3, first 2 shown]
	v_mul_f64 v[68:69], v[68:69], v[90:91]
	v_fma_f64 v[70:71], v[70:71], v[88:89], v[68:69]
	s_clause 0x3
	global_load_dwordx4 v[86:89], v[84:85], off offset:112
	global_load_dwordx4 v[90:93], v[84:85], off offset:96
	;; [unrolled: 1-line block ×4, first 2 shown]
	s_waitcnt vmcnt(0) lgkmcnt(14)
	v_mul_f64 v[68:69], v[66:67], v[100:101]
	v_fma_f64 v[68:69], v[64:65], v[98:99], -v[68:69]
	buffer_store_dword v98, off, s[28:31], 0 offset:732 ; 4-byte Folded Spill
	buffer_store_dword v99, off, s[28:31], 0 offset:736 ; 4-byte Folded Spill
	;; [unrolled: 1-line block ×16, first 2 shown]
	v_mul_f64 v[64:65], v[64:65], v[100:101]
	v_fma_f64 v[64:65], v[66:67], v[98:99], v[64:65]
	s_waitcnt lgkmcnt(13)
	v_mul_f64 v[66:67], v[62:63], v[96:97]
	v_fma_f64 v[66:67], v[60:61], v[94:95], -v[66:67]
	v_mul_f64 v[60:61], v[60:61], v[96:97]
	v_fma_f64 v[62:63], v[62:63], v[94:95], v[60:61]
	s_waitcnt lgkmcnt(12)
	v_mul_f64 v[60:61], v[58:59], v[92:93]
	v_fma_f64 v[60:61], v[56:57], v[90:91], -v[60:61]
	;; [unrolled: 5-line block ×3, first 2 shown]
	v_mul_f64 v[52:53], v[52:53], v[88:89]
	v_fma_f64 v[54:55], v[54:55], v[86:87], v[52:53]
	global_load_dwordx4 v[84:87], v[84:85], off offset:128
	s_waitcnt vmcnt(0) lgkmcnt(10)
	v_mul_f64 v[52:53], v[50:51], v[86:87]
	v_fma_f64 v[52:53], v[48:49], v[84:85], -v[52:53]
	buffer_store_dword v84, off, s[28:31], 0 offset:796 ; 4-byte Folded Spill
	buffer_store_dword v85, off, s[28:31], 0 offset:800 ; 4-byte Folded Spill
	;; [unrolled: 1-line block ×4, first 2 shown]
	v_mul_f64 v[48:49], v[48:49], v[86:87]
	v_fma_f64 v[48:49], v[50:51], v[84:85], v[48:49]
	v_mov_b32_e32 v50, 0xaaab
	v_mul_u32_u24_sdwa v50, v173, v50 dst_sel:DWORD dst_unused:UNUSED_PAD src0_sel:WORD_0 src1_sel:DWORD
	v_lshrrev_b32_e32 v178, 17, v50
	v_mul_lo_u16 v50, v178, 3
	v_sub_nc_u16 v179, v173, v50
	v_mul_lo_u16 v50, 0x90, v179
	v_and_b32_e32 v50, 0xffff, v50
	v_add_co_u32 v50, s6, s10, v50
	v_add_co_ci_u32_e64 v51, null, s11, 0, s6
	s_clause 0x3
	global_load_dwordx4 v[90:93], v[50:51], off offset:48
	global_load_dwordx4 v[86:89], v[50:51], off offset:32
	;; [unrolled: 1-line block ×3, first 2 shown]
	global_load_dwordx4 v[102:105], v[50:51], off
	s_mov_b32 s6, 0x134454ff
	s_mov_b32 s7, 0x3fee6f0e
	;; [unrolled: 1-line block ×3, first 2 shown]
	s_waitcnt vmcnt(0) lgkmcnt(8)
	v_mul_f64 v[84:85], v[42:43], v[104:105]
	v_fma_f64 v[100:101], v[40:41], v[102:103], -v[84:85]
	buffer_store_dword v102, off, s[28:31], 0 offset:812 ; 4-byte Folded Spill
	buffer_store_dword v103, off, s[28:31], 0 offset:816 ; 4-byte Folded Spill
	;; [unrolled: 1-line block ×8, first 2 shown]
	v_mul_f64 v[40:41], v[40:41], v[104:105]
	v_fma_f64 v[84:85], v[42:43], v[102:103], v[40:41]
	s_waitcnt lgkmcnt(7)
	v_mul_f64 v[40:41], v[38:39], v[96:97]
	v_fma_f64 v[108:109], v[36:37], v[94:95], -v[40:41]
	v_mul_f64 v[36:37], v[36:37], v[96:97]
	v_fma_f64 v[104:105], v[38:39], v[94:95], v[36:37]
	v_mov_b32_e32 v38, v86
	v_mov_b32_e32 v39, v87
	;; [unrolled: 1-line block ×4, first 2 shown]
	buffer_store_dword v38, off, s[28:31], 0 offset:844 ; 4-byte Folded Spill
	buffer_store_dword v39, off, s[28:31], 0 offset:848 ; 4-byte Folded Spill
	;; [unrolled: 1-line block ×8, first 2 shown]
	s_waitcnt lgkmcnt(6)
	v_mul_f64 v[36:37], v[34:35], v[40:41]
	v_fma_f64 v[88:89], v[32:33], v[38:39], -v[36:37]
	v_mul_f64 v[32:33], v[32:33], v[40:41]
	v_fma_f64 v[86:87], v[34:35], v[38:39], v[32:33]
	s_waitcnt lgkmcnt(5)
	v_mul_f64 v[32:33], v[30:31], v[92:93]
	v_fma_f64 v[110:111], v[28:29], v[90:91], -v[32:33]
	v_mul_f64 v[28:29], v[28:29], v[92:93]
	v_fma_f64 v[106:107], v[30:31], v[90:91], v[28:29]
	s_clause 0x3
	global_load_dwordx4 v[30:33], v[50:51], off offset:112
	global_load_dwordx4 v[34:37], v[50:51], off offset:96
	;; [unrolled: 1-line block ×4, first 2 shown]
	s_waitcnt vmcnt(1)
	buffer_store_dword v38, off, s[28:31], 0 offset:940 ; 4-byte Folded Spill
	buffer_store_dword v39, off, s[28:31], 0 offset:944 ; 4-byte Folded Spill
	;; [unrolled: 1-line block ×12, first 2 shown]
	global_load_dwordx4 v[252:255], v[50:51], off offset:128
	s_waitcnt vmcnt(1) lgkmcnt(4)
	v_mul_f64 v[28:29], v[26:27], v[246:247]
	s_waitcnt vmcnt(0) lgkmcnt(0)
	s_waitcnt_vscnt null, 0x0
	s_barrier
	buffer_gl0_inv
	v_fma_f64 v[92:93], v[24:25], v[244:245], -v[28:29]
	v_mul_f64 v[24:25], v[24:25], v[246:247]
	v_fma_f64 v[90:91], v[26:27], v[244:245], v[24:25]
	v_mul_f64 v[24:25], v[22:23], v[40:41]
	v_fma_f64 v[116:117], v[20:21], v[38:39], -v[24:25]
	v_mul_f64 v[20:21], v[20:21], v[40:41]
	v_fma_f64 v[112:113], v[22:23], v[38:39], v[20:21]
	v_mul_f64 v[20:21], v[18:19], v[36:37]
	v_fma_f64 v[96:97], v[16:17], v[34:35], -v[20:21]
	v_mul_f64 v[16:17], v[16:17], v[36:37]
	v_add_f64 v[20:21], v[140:141], -v[142:143]
	v_fma_f64 v[94:95], v[18:19], v[34:35], v[16:17]
	v_mul_f64 v[16:17], v[14:15], v[32:33]
	v_add_f64 v[18:19], v[156:157], -v[154:155]
	v_fma_f64 v[118:119], v[12:13], v[30:31], -v[16:17]
	v_mul_f64 v[12:13], v[12:13], v[32:33]
	v_add_f64 v[16:17], v[144:145], -v[146:147]
	v_fma_f64 v[114:115], v[14:15], v[30:31], v[12:13]
	v_mul_f64 v[12:13], v[10:11], v[254:255]
	v_add_f64 v[14:15], v[136:137], -v[150:151]
	v_add_f64 v[16:17], v[16:17], v[18:19]
	v_add_f64 v[18:19], v[142:143], -v[140:141]
	v_fma_f64 v[102:103], v[8:9], v[252:253], -v[12:13]
	v_mul_f64 v[8:9], v[8:9], v[254:255]
	v_fma_f64 v[98:99], v[10:11], v[252:253], v[8:9]
	v_add_f64 v[8:9], v[4:5], v[144:145]
	v_add_f64 v[10:11], v[134:135], -v[152:153]
	v_add_f64 v[8:9], v[8:9], v[146:147]
	v_add_f64 v[8:9], v[8:9], v[154:155]
	;; [unrolled: 1-line block ×4, first 2 shown]
	v_fma_f64 v[8:9], v[8:9], -0.5, v[4:5]
	v_fma_f64 v[12:13], v[10:11], s[6:7], v[8:9]
	v_fma_f64 v[8:9], v[10:11], s[16:17], v[8:9]
	;; [unrolled: 1-line block ×6, first 2 shown]
	v_add_f64 v[8:9], v[144:145], v[156:157]
	v_add_f64 v[12:13], v[146:147], -v[144:145]
	v_add_f64 v[16:17], v[154:155], -v[156:157]
	v_fma_f64 v[4:5], v[8:9], -0.5, v[4:5]
	v_add_f64 v[12:13], v[12:13], v[16:17]
	v_add_f64 v[16:17], v[152:153], -v[150:151]
	v_fma_f64 v[8:9], v[14:15], s[16:17], v[4:5]
	v_fma_f64 v[4:5], v[14:15], s[6:7], v[4:5]
	v_add_f64 v[14:15], v[134:135], -v[136:137]
	v_fma_f64 v[8:9], v[10:11], s[8:9], v[8:9]
	v_fma_f64 v[4:5], v[10:11], s[18:19], v[4:5]
	v_add_f64 v[14:15], v[14:15], v[16:17]
	v_add_f64 v[16:17], v[138:139], -v[148:149]
	v_fma_f64 v[28:29], v[12:13], s[14:15], v[8:9]
	v_fma_f64 v[38:39], v[12:13], s[14:15], v[4:5]
	v_add_f64 v[4:5], v[6:7], v[134:135]
	v_add_f64 v[8:9], v[144:145], -v[156:157]
	v_add_f64 v[12:13], v[146:147], -v[154:155]
	v_add_f64 v[4:5], v[4:5], v[136:137]
	v_add_f64 v[4:5], v[4:5], v[150:151]
	;; [unrolled: 1-line block ×4, first 2 shown]
	v_fma_f64 v[4:5], v[4:5], -0.5, v[6:7]
	v_fma_f64 v[10:11], v[8:9], s[16:17], v[4:5]
	v_fma_f64 v[4:5], v[8:9], s[6:7], v[4:5]
	;; [unrolled: 1-line block ×6, first 2 shown]
	v_add_f64 v[4:5], v[134:135], v[152:153]
	v_add_f64 v[10:11], v[136:137], -v[134:135]
	v_add_f64 v[14:15], v[150:151], -v[152:153]
	v_fma_f64 v[4:5], v[4:5], -0.5, v[6:7]
	v_add_f64 v[10:11], v[10:11], v[14:15]
	v_add_f64 v[14:15], v[148:149], -v[138:139]
	v_fma_f64 v[6:7], v[12:13], s[6:7], v[4:5]
	v_fma_f64 v[4:5], v[12:13], s[16:17], v[4:5]
	v_add_f64 v[12:13], v[126:127], -v[132:133]
	v_fma_f64 v[6:7], v[8:9], s[18:19], v[6:7]
	v_fma_f64 v[4:5], v[8:9], s[8:9], v[4:5]
	v_add_f64 v[12:13], v[12:13], v[14:15]
	v_fma_f64 v[134:135], v[10:11], s[14:15], v[6:7]
	v_fma_f64 v[136:137], v[10:11], s[14:15], v[4:5]
	v_add_f64 v[4:5], v[158:159], v[126:127]
	v_add_f64 v[6:7], v[124:125], -v[142:143]
	v_add_f64 v[10:11], v[130:131], -v[140:141]
	v_add_f64 v[4:5], v[4:5], v[132:133]
	v_add_f64 v[4:5], v[4:5], v[138:139]
	;; [unrolled: 1-line block ×4, first 2 shown]
	v_fma_f64 v[4:5], v[4:5], -0.5, v[158:159]
	v_fma_f64 v[8:9], v[6:7], s[6:7], v[4:5]
	v_fma_f64 v[4:5], v[6:7], s[16:17], v[4:5]
	;; [unrolled: 1-line block ×6, first 2 shown]
	v_add_f64 v[4:5], v[126:127], v[148:149]
	v_add_f64 v[12:13], v[132:133], -v[126:127]
	v_fma_f64 v[4:5], v[4:5], -0.5, v[158:159]
	v_add_f64 v[12:13], v[12:13], v[16:17]
	v_add_f64 v[16:17], v[124:125], -v[130:131]
	v_fma_f64 v[8:9], v[10:11], s[16:17], v[4:5]
	v_fma_f64 v[4:5], v[10:11], s[6:7], v[4:5]
	v_add_f64 v[16:17], v[16:17], v[18:19]
	v_add_f64 v[18:19], v[130:131], -v[124:125]
	v_fma_f64 v[8:9], v[6:7], s[8:9], v[8:9]
	v_fma_f64 v[4:5], v[6:7], s[18:19], v[4:5]
	v_add_f64 v[18:19], v[18:19], v[20:21]
	v_add_f64 v[20:21], v[24:25], v[32:33]
	v_fma_f64 v[40:41], v[12:13], s[14:15], v[8:9]
	v_fma_f64 v[6:7], v[12:13], s[14:15], v[4:5]
	v_add_f64 v[4:5], v[122:123], v[124:125]
	v_add_f64 v[8:9], v[126:127], -v[148:149]
	v_add_f64 v[12:13], v[132:133], -v[138:139]
	v_add_f64 v[4:5], v[4:5], v[130:131]
	v_add_f64 v[4:5], v[4:5], v[140:141]
	;; [unrolled: 1-line block ×5, first 2 shown]
	v_fma_f64 v[4:5], v[4:5], -0.5, v[122:123]
	v_add_f64 v[42:43], v[34:35], -v[42:43]
	v_fma_f64 v[10:11], v[8:9], s[16:17], v[4:5]
	v_fma_f64 v[4:5], v[8:9], s[6:7], v[4:5]
	;; [unrolled: 1-line block ×6, first 2 shown]
	v_add_f64 v[4:5], v[124:125], v[142:143]
	v_fma_f64 v[4:5], v[4:5], -0.5, v[122:123]
	v_fma_f64 v[16:17], v[12:13], s[6:7], v[4:5]
	v_fma_f64 v[4:5], v[12:13], s[16:17], v[4:5]
	;; [unrolled: 1-line block ×6, first 2 shown]
	v_mul_f64 v[4:5], v[10:11], s[8:9]
	v_fma_f64 v[129:130], v[14:15], s[20:21], v[4:5]
	v_mul_f64 v[4:5], v[122:123], s[6:7]
	v_mul_f64 v[14:15], v[14:15], s[18:19]
	v_add_f64 v[16:17], v[26:27], v[129:130]
	v_fma_f64 v[131:132], v[40:41], s[14:15], v[4:5]
	v_mul_f64 v[4:5], v[6:7], s[22:23]
	v_fma_f64 v[142:143], v[10:11], s[20:21], v[14:15]
	v_mul_f64 v[10:11], v[40:41], s[16:17]
	v_add_f64 v[40:41], v[24:25], -v[32:33]
	v_add_f64 v[12:13], v[28:29], v[131:132]
	v_fma_f64 v[138:139], v[124:125], s[6:7], v[4:5]
	v_add_f64 v[18:19], v[50:51], v[142:143]
	v_add_f64 v[32:33], v[28:29], -v[131:132]
	v_fma_f64 v[122:123], v[122:123], s[14:15], v[10:11]
	v_mul_f64 v[10:11], v[124:125], s[22:23]
	v_mul_f64 v[4:5], v[36:37], s[24:25]
	v_add_f64 v[131:132], v[58:59], -v[66:67]
	v_add_f64 v[8:9], v[38:39], v[138:139]
	v_add_f64 v[28:29], v[38:39], -v[138:139]
	v_add_f64 v[38:39], v[50:51], -v[142:143]
	v_add_f64 v[50:51], v[44:45], v[82:83]
	v_add_f64 v[14:15], v[134:135], v[122:123]
	v_fma_f64 v[124:125], v[6:7], s[16:17], v[10:11]
	v_mul_f64 v[6:7], v[126:127], s[24:25]
	v_add_f64 v[34:35], v[134:135], -v[122:123]
	v_fma_f64 v[140:141], v[126:127], s[8:9], v[4:5]
	v_add_f64 v[122:123], v[78:79], -v[54:55]
	v_add_f64 v[50:51], v[50:51], v[74:75]
	v_add_f64 v[10:11], v[136:137], v[124:125]
	v_fma_f64 v[126:127], v[36:37], s[18:19], v[6:7]
	v_add_f64 v[36:37], v[26:27], -v[129:130]
	v_add_f64 v[4:5], v[30:31], v[140:141]
	v_add_f64 v[24:25], v[30:31], -v[140:141]
	v_add_f64 v[30:31], v[136:137], -v[124:125]
	v_add_f64 v[129:130], v[82:83], -v[74:75]
	v_add_f64 v[136:137], v[66:67], -v[58:59]
	v_add_f64 v[50:51], v[50:51], v[66:67]
	v_add_f64 v[6:7], v[144:145], v[126:127]
	v_add_f64 v[26:27], v[144:145], -v[126:127]
	v_add_f64 v[126:127], v[70:71], -v[62:63]
	v_add_f64 v[132:133], v[129:130], v[131:132]
	v_add_f64 v[134:135], v[50:51], v[58:59]
	;; [unrolled: 1-line block ×3, first 2 shown]
	v_fma_f64 v[50:51], v[50:51], -0.5, v[44:45]
	v_fma_f64 v[124:125], v[122:123], s[6:7], v[50:51]
	v_fma_f64 v[50:51], v[122:123], s[16:17], v[50:51]
	;; [unrolled: 1-line block ×6, first 2 shown]
	v_add_f64 v[50:51], v[82:83], v[58:59]
	v_add_f64 v[124:125], v[74:75], -v[82:83]
	v_fma_f64 v[44:45], v[50:51], -0.5, v[44:45]
	v_add_f64 v[124:125], v[124:125], v[136:137]
	v_fma_f64 v[50:51], v[126:127], s[16:17], v[44:45]
	v_fma_f64 v[44:45], v[126:127], s[6:7], v[44:45]
	;; [unrolled: 1-line block ×6, first 2 shown]
	v_add_f64 v[44:45], v[46:47], v[78:79]
	v_add_f64 v[50:51], v[82:83], -v[58:59]
	v_add_f64 v[82:83], v[74:75], -v[66:67]
	;; [unrolled: 1-line block ×4, first 2 shown]
	v_add_f64 v[44:45], v[44:45], v[70:71]
	v_add_f64 v[66:67], v[66:67], v[74:75]
	;; [unrolled: 1-line block ×5, first 2 shown]
	v_fma_f64 v[44:45], v[44:45], -0.5, v[46:47]
	v_fma_f64 v[58:59], v[50:51], s[16:17], v[44:45]
	v_fma_f64 v[44:45], v[50:51], s[6:7], v[44:45]
	;; [unrolled: 1-line block ×6, first 2 shown]
	v_add_f64 v[44:45], v[78:79], v[54:55]
	v_add_f64 v[58:59], v[70:71], -v[78:79]
	v_add_f64 v[54:55], v[62:63], -v[54:55]
	;; [unrolled: 1-line block ×4, first 2 shown]
	v_fma_f64 v[44:45], v[44:45], -0.5, v[46:47]
	v_add_f64 v[54:55], v[58:59], v[54:55]
	v_add_f64 v[58:59], v[76:77], -v[68:69]
	v_fma_f64 v[46:47], v[82:83], s[6:7], v[44:45]
	v_fma_f64 v[44:45], v[82:83], s[16:17], v[44:45]
	v_add_f64 v[58:59], v[58:59], v[62:63]
	v_add_f64 v[62:63], v[68:69], -v[76:77]
	v_fma_f64 v[46:47], v[50:51], s[18:19], v[46:47]
	v_fma_f64 v[44:45], v[50:51], s[8:9], v[44:45]
	v_add_f64 v[62:63], v[62:63], v[78:79]
	v_fma_f64 v[74:75], v[54:55], s[14:15], v[46:47]
	v_fma_f64 v[70:71], v[54:55], s[14:15], v[44:45]
	v_add_f64 v[44:45], v[120:121], v[76:77]
	v_add_f64 v[46:47], v[72:73], -v[48:49]
	v_add_f64 v[54:55], v[64:65], -v[56:57]
	v_add_f64 v[44:45], v[44:45], v[68:69]
	v_add_f64 v[44:45], v[44:45], v[60:61]
	;; [unrolled: 1-line block ×4, first 2 shown]
	v_fma_f64 v[44:45], v[44:45], -0.5, v[120:121]
	v_fma_f64 v[50:51], v[46:47], s[6:7], v[44:45]
	v_fma_f64 v[44:45], v[46:47], s[16:17], v[44:45]
	;; [unrolled: 1-line block ×6, first 2 shown]
	v_add_f64 v[44:45], v[76:77], v[52:53]
	v_add_f64 v[52:53], v[76:77], -v[52:53]
	v_fma_f64 v[44:45], v[44:45], -0.5, v[120:121]
	v_fma_f64 v[58:59], v[54:55], s[16:17], v[44:45]
	v_fma_f64 v[44:45], v[54:55], s[6:7], v[44:45]
	;; [unrolled: 1-line block ×6, first 2 shown]
	v_add_f64 v[44:45], v[80:81], v[72:73]
	v_add_f64 v[58:59], v[68:69], -v[60:61]
	v_add_f64 v[60:61], v[72:73], -v[64:65]
	;; [unrolled: 1-line block ×3, first 2 shown]
	v_add_f64 v[44:45], v[44:45], v[64:65]
	v_add_f64 v[60:61], v[60:61], v[62:63]
	v_add_f64 v[62:63], v[64:65], -v[72:73]
	v_add_f64 v[44:45], v[44:45], v[56:57]
	v_add_f64 v[144:145], v[44:45], v[48:49]
	;; [unrolled: 1-line block ×3, first 2 shown]
	v_fma_f64 v[44:45], v[44:45], -0.5, v[80:81]
	v_fma_f64 v[54:55], v[52:53], s[16:17], v[44:45]
	v_fma_f64 v[44:45], v[52:53], s[6:7], v[44:45]
	;; [unrolled: 1-line block ×6, first 2 shown]
	v_add_f64 v[44:45], v[72:73], v[48:49]
	v_add_f64 v[48:49], v[56:57], -v[48:49]
	v_fma_f64 v[44:45], v[44:45], -0.5, v[80:81]
	v_add_f64 v[48:49], v[62:63], v[48:49]
	v_add_f64 v[80:81], v[134:135], -v[82:83]
	v_add_f64 v[62:63], v[140:141], v[144:145]
	v_fma_f64 v[60:61], v[58:59], s[6:7], v[44:45]
	v_fma_f64 v[44:45], v[58:59], s[16:17], v[44:45]
	;; [unrolled: 1-line block ×6, first 2 shown]
	v_mul_f64 v[44:45], v[54:55], s[8:9]
	v_add_f64 v[60:61], v[134:135], v[82:83]
	v_add_f64 v[82:83], v[140:141], -v[144:145]
	v_fma_f64 v[76:77], v[50:51], s[20:21], v[44:45]
	v_mul_f64 v[50:51], v[50:51], s[18:19]
	v_mul_f64 v[44:45], v[64:65], s[6:7]
	v_add_f64 v[56:57], v[130:131], v[76:77]
	v_fma_f64 v[78:79], v[54:55], s[20:21], v[50:51]
	v_mul_f64 v[50:51], v[120:121], s[16:17]
	v_fma_f64 v[146:147], v[120:121], s[14:15], v[44:45]
	v_mul_f64 v[44:45], v[46:47], s[22:23]
	v_add_f64 v[76:77], v[130:131], -v[76:77]
	v_add_f64 v[129:130], v[108:109], -v[110:111]
	v_add_f64 v[58:59], v[122:123], v[78:79]
	v_fma_f64 v[126:127], v[64:65], s[14:15], v[50:51]
	v_mul_f64 v[50:51], v[72:73], s[22:23]
	v_fma_f64 v[148:149], v[72:73], s[6:7], v[44:45]
	v_mul_f64 v[44:45], v[142:143], s[24:25]
	v_add_f64 v[78:79], v[122:123], -v[78:79]
	v_add_f64 v[122:123], v[104:105], -v[114:115]
	v_add_f64 v[52:53], v[136:137], v[146:147]
	v_add_f64 v[72:73], v[136:137], -v[146:147]
	v_add_f64 v[135:136], v[116:117], -v[118:119]
	v_add_f64 v[54:55], v[74:75], v[126:127]
	v_fma_f64 v[124:125], v[46:47], s[16:17], v[50:51]
	v_mul_f64 v[46:47], v[68:69], s[24:25]
	v_fma_f64 v[150:151], v[68:69], s[8:9], v[44:45]
	v_add_f64 v[74:75], v[74:75], -v[126:127]
	v_add_f64 v[48:49], v[138:139], v[148:149]
	v_add_f64 v[68:69], v[138:139], -v[148:149]
	v_add_f64 v[50:51], v[70:71], v[124:125]
	v_fma_f64 v[120:121], v[142:143], s[18:19], v[46:47]
	v_add_f64 v[70:71], v[70:71], -v[124:125]
	v_add_f64 v[44:45], v[132:133], v[150:151]
	v_add_f64 v[64:65], v[132:133], -v[150:151]
	v_add_f64 v[131:132], v[106:107], -v[112:113]
	;; [unrolled: 1-line block ×3, first 2 shown]
	v_add_f64 v[46:47], v[66:67], v[120:121]
	v_add_f64 v[66:67], v[66:67], -v[120:121]
	v_add_f64 v[120:121], v[0:1], v[108:109]
	v_add_f64 v[129:130], v[129:130], v[133:134]
	v_add_f64 v[133:134], v[110:111], -v[108:109]
	v_add_f64 v[120:121], v[120:121], v[110:111]
	v_add_f64 v[133:134], v[133:134], v[135:136]
	;; [unrolled: 1-line block ×5, first 2 shown]
	v_add_f64 v[116:117], v[110:111], -v[116:117]
	v_fma_f64 v[120:121], v[120:121], -0.5, v[0:1]
	v_fma_f64 v[126:127], v[122:123], s[6:7], v[120:121]
	v_fma_f64 v[120:121], v[122:123], s[16:17], v[120:121]
	;; [unrolled: 1-line block ×6, first 2 shown]
	v_add_f64 v[120:121], v[108:109], v[118:119]
	v_add_f64 v[108:109], v[108:109], -v[118:119]
	v_fma_f64 v[0:1], v[120:121], -0.5, v[0:1]
	v_fma_f64 v[120:121], v[131:132], s[16:17], v[0:1]
	v_fma_f64 v[0:1], v[131:132], s[6:7], v[0:1]
	;; [unrolled: 1-line block ×6, first 2 shown]
	v_add_f64 v[0:1], v[2:3], v[104:105]
	v_add_f64 v[120:121], v[114:115], -v[112:113]
	v_add_f64 v[0:1], v[0:1], v[106:107]
	v_add_f64 v[0:1], v[0:1], v[112:113]
	;; [unrolled: 1-line block ×4, first 2 shown]
	v_fma_f64 v[0:1], v[0:1], -0.5, v[2:3]
	v_fma_f64 v[118:119], v[108:109], s[16:17], v[0:1]
	v_fma_f64 v[0:1], v[108:109], s[6:7], v[0:1]
	;; [unrolled: 1-line block ×3, first 2 shown]
	v_add_f64 v[118:119], v[104:105], -v[106:107]
	v_fma_f64 v[0:1], v[116:117], s[8:9], v[0:1]
	v_add_f64 v[118:119], v[118:119], v[120:121]
	v_fma_f64 v[120:121], v[118:119], s[14:15], v[0:1]
	v_add_f64 v[0:1], v[104:105], v[114:115]
	v_add_f64 v[104:105], v[106:107], -v[104:105]
	v_add_f64 v[106:107], v[112:113], -v[114:115]
	v_fma_f64 v[122:123], v[118:119], s[14:15], v[110:111]
	v_add_f64 v[112:113], v[90:91], -v[94:95]
	v_add_f64 v[114:115], v[88:89], -v[92:93]
	;; [unrolled: 1-line block ×3, first 2 shown]
	v_fma_f64 v[0:1], v[0:1], -0.5, v[2:3]
	v_add_f64 v[104:105], v[104:105], v[106:107]
	v_fma_f64 v[2:3], v[116:117], s[6:7], v[0:1]
	v_fma_f64 v[0:1], v[116:117], s[16:17], v[0:1]
	v_add_f64 v[116:117], v[102:103], -v[96:97]
	v_fma_f64 v[2:3], v[108:109], s[18:19], v[2:3]
	v_fma_f64 v[0:1], v[108:109], s[8:9], v[0:1]
	v_add_f64 v[114:115], v[114:115], v[116:117]
	v_add_f64 v[116:117], v[92:93], -v[88:89]
	v_fma_f64 v[110:111], v[104:105], s[14:15], v[2:3]
	v_fma_f64 v[106:107], v[104:105], s[14:15], v[0:1]
	v_add_f64 v[0:1], v[100:101], v[88:89]
	v_add_f64 v[2:3], v[86:87], -v[98:99]
	v_add_f64 v[116:117], v[116:117], v[118:119]
	v_add_f64 v[0:1], v[0:1], v[92:93]
	;; [unrolled: 1-line block ×5, first 2 shown]
	v_add_f64 v[92:93], v[92:93], -v[96:97]
	v_fma_f64 v[0:1], v[0:1], -0.5, v[100:101]
	v_fma_f64 v[108:109], v[2:3], s[6:7], v[0:1]
	v_fma_f64 v[0:1], v[2:3], s[16:17], v[0:1]
	;; [unrolled: 1-line block ×6, first 2 shown]
	v_add_f64 v[0:1], v[88:89], v[102:103]
	v_add_f64 v[88:89], v[88:89], -v[102:103]
	v_fma_f64 v[0:1], v[0:1], -0.5, v[100:101]
	v_fma_f64 v[100:101], v[112:113], s[16:17], v[0:1]
	v_fma_f64 v[0:1], v[112:113], s[6:7], v[0:1]
	v_add_f64 v[112:113], v[98:99], -v[94:95]
	v_fma_f64 v[100:101], v[2:3], s[8:9], v[100:101]
	v_fma_f64 v[0:1], v[2:3], s[18:19], v[0:1]
	;; [unrolled: 1-line block ×4, first 2 shown]
	v_add_f64 v[0:1], v[84:85], v[86:87]
	v_add_f64 v[116:117], v[124:125], -v[104:105]
	v_add_f64 v[0:1], v[0:1], v[90:91]
	v_add_f64 v[0:1], v[0:1], v[94:95]
	;; [unrolled: 1-line block ×4, first 2 shown]
	v_fma_f64 v[0:1], v[0:1], -0.5, v[84:85]
	v_fma_f64 v[102:103], v[88:89], s[16:17], v[0:1]
	v_fma_f64 v[0:1], v[88:89], s[6:7], v[0:1]
	;; [unrolled: 1-line block ×3, first 2 shown]
	v_add_f64 v[102:103], v[86:87], -v[90:91]
	v_fma_f64 v[0:1], v[92:93], s[8:9], v[0:1]
	v_add_f64 v[102:103], v[102:103], v[112:113]
	v_fma_f64 v[112:113], v[102:103], s[14:15], v[96:97]
	v_fma_f64 v[102:103], v[102:103], s[14:15], v[0:1]
	v_add_f64 v[0:1], v[86:87], v[98:99]
	v_add_f64 v[86:87], v[90:91], -v[86:87]
	v_add_f64 v[90:91], v[94:95], -v[98:99]
	v_mul_f64 v[94:95], v[108:109], s[18:19]
	v_add_f64 v[96:97], v[124:125], v[104:105]
	v_add_f64 v[98:99], v[133:134], v[118:119]
	v_add_f64 v[118:119], v[133:134], -v[118:119]
	v_fma_f64 v[0:1], v[0:1], -0.5, v[84:85]
	v_add_f64 v[86:87], v[86:87], v[90:91]
	v_fma_f64 v[145:146], v[112:113], s[20:21], v[94:95]
	v_fma_f64 v[84:85], v[92:93], s[6:7], v[0:1]
	v_fma_f64 v[0:1], v[92:93], s[16:17], v[0:1]
	v_add_f64 v[94:95], v[122:123], v[145:146]
	v_fma_f64 v[84:85], v[88:89], s[18:19], v[84:85]
	v_fma_f64 v[0:1], v[88:89], s[8:9], v[0:1]
	;; [unrolled: 1-line block ×4, first 2 shown]
	v_mul_f64 v[0:1], v[112:113], s[8:9]
	v_fma_f64 v[137:138], v[108:109], s[20:21], v[0:1]
	v_mul_f64 v[0:1], v[90:91], s[6:7]
	v_add_f64 v[92:93], v[126:127], v[137:138]
	v_fma_f64 v[139:140], v[100:101], s[14:15], v[0:1]
	v_mul_f64 v[0:1], v[2:3], s[22:23]
	v_mul_f64 v[100:101], v[100:101], s[16:17]
	v_add_f64 v[112:113], v[126:127], -v[137:138]
	v_add_f64 v[88:89], v[135:136], v[139:140]
	v_fma_f64 v[141:142], v[86:87], s[6:7], v[0:1]
	v_mul_f64 v[86:87], v[86:87], s[22:23]
	v_mul_f64 v[0:1], v[114:115], s[24:25]
	v_fma_f64 v[147:148], v[90:91], s[14:15], v[100:101]
	v_add_f64 v[108:109], v[135:136], -v[139:140]
	v_add_f64 v[84:85], v[131:132], v[141:142]
	v_fma_f64 v[149:150], v[2:3], s[16:17], v[86:87]
	v_mul_f64 v[2:3], v[102:103], s[24:25]
	v_fma_f64 v[143:144], v[102:103], s[8:9], v[0:1]
	v_add_f64 v[104:105], v[131:132], -v[141:142]
	v_add_f64 v[90:91], v[110:111], v[147:148]
	v_add_f64 v[110:111], v[110:111], -v[147:148]
	v_add_f64 v[86:87], v[106:107], v[149:150]
	v_fma_f64 v[102:103], v[114:115], s[18:19], v[2:3]
	v_add_f64 v[0:1], v[129:130], v[143:144]
	v_add_f64 v[114:115], v[122:123], -v[145:146]
	v_add_f64 v[106:107], v[106:107], -v[149:150]
	v_add_f64 v[100:101], v[129:130], -v[143:144]
	v_add_f64 v[2:3], v[120:121], v[102:103]
	v_add_f64 v[102:103], v[120:121], -v[102:103]
	v_mov_b32_e32 v120, 30
	v_mul_u32_u24_sdwa v121, v161, v120 dst_sel:DWORD dst_unused:UNUSED_PAD src0_sel:WORD_0 src1_sel:DWORD
	v_add_lshl_u32 v163, v121, v163, 4
	ds_write_b128 v163, v[20:23]
	ds_write_b128 v163, v[16:19] offset:48
	ds_write_b128 v163, v[12:15] offset:96
	;; [unrolled: 1-line block ×9, first 2 shown]
	v_mul_u32_u24_sdwa v4, v164, v120 dst_sel:DWORD dst_unused:UNUSED_PAD src0_sel:WORD_0 src1_sel:DWORD
	v_mul_lo_u16 v120, 0x89, v160
	v_add_lshl_u32 v184, v4, v177, 4
	v_lshrrev_b16 v142, 12, v120
	v_mad_u16 v4, v178, 30, v179
	ds_write_b128 v184, v[60:63]
	ds_write_b128 v184, v[56:59] offset:48
	ds_write_b128 v184, v[52:55] offset:96
	;; [unrolled: 1-line block ×9, first 2 shown]
	v_mul_lo_u16 v120, v142, 30
	v_lshlrev_b32_sdwa v164, v175, v4 dst_sel:DWORD dst_unused:UNUSED_PAD src0_sel:DWORD src1_sel:WORD_0
	ds_write_b128 v164, v[96:99]
	ds_write_b128 v164, v[92:95] offset:48
	ds_write_b128 v164, v[88:91] offset:96
	;; [unrolled: 1-line block ×9, first 2 shown]
	v_sub_nc_u16 v120, v165, v120
	s_waitcnt lgkmcnt(0)
	s_barrier
	buffer_gl0_inv
	ds_read_b128 v[4:7], v128
	ds_read_b128 v[104:107], v128 offset:4320
	ds_read_b128 v[108:111], v128 offset:8640
	;; [unrolled: 1-line block ×29, first 2 shown]
	v_and_b32_e32 v143, 0xff, v120
	v_mad_u64_u32 v[120:121], null, 0x90, v143, s[10:11]
	s_clause 0x3
	global_load_dwordx4 v[129:132], v[120:121], off offset:480
	global_load_dwordx4 v[124:127], v[120:121], off offset:464
	;; [unrolled: 1-line block ×4, first 2 shown]
	s_waitcnt vmcnt(0) lgkmcnt(28)
	v_mul_f64 v[122:123], v[106:107], v[146:147]
	v_fma_f64 v[138:139], v[104:105], v[144:145], -v[122:123]
	buffer_store_dword v144, off, s[28:31], 0 offset:876 ; 4-byte Folded Spill
	buffer_store_dword v145, off, s[28:31], 0 offset:880 ; 4-byte Folded Spill
	;; [unrolled: 1-line block ×8, first 2 shown]
	v_mul_f64 v[104:105], v[104:105], v[146:147]
	v_fma_f64 v[122:123], v[106:107], v[144:145], v[104:105]
	s_waitcnt lgkmcnt(27)
	v_mul_f64 v[104:105], v[110:111], v[135:136]
	v_fma_f64 v[154:155], v[108:109], v[133:134], -v[104:105]
	v_mul_f64 v[104:105], v[108:109], v[135:136]
	v_mov_b32_e32 v106, v124
	v_mov_b32_e32 v107, v125
	;; [unrolled: 1-line block ×4, first 2 shown]
	buffer_store_dword v106, off, s[28:31], 0 offset:908 ; 4-byte Folded Spill
	buffer_store_dword v107, off, s[28:31], 0 offset:912 ; 4-byte Folded Spill
	;; [unrolled: 1-line block ×8, first 2 shown]
	v_fma_f64 v[150:151], v[110:111], v[133:134], v[104:105]
	s_waitcnt lgkmcnt(26)
	v_mul_f64 v[104:105], v[114:115], v[108:109]
	v_fma_f64 v[126:127], v[112:113], v[106:107], -v[104:105]
	v_mul_f64 v[104:105], v[112:113], v[108:109]
	v_fma_f64 v[124:125], v[114:115], v[106:107], v[104:105]
	s_waitcnt lgkmcnt(25)
	v_mul_f64 v[104:105], v[118:119], v[131:132]
	v_fma_f64 v[156:157], v[116:117], v[129:130], -v[104:105]
	v_mul_f64 v[104:105], v[116:117], v[131:132]
	s_clause 0x3
	global_load_dwordx4 v[106:109], v[120:121], off offset:544
	global_load_dwordx4 v[110:113], v[120:121], off offset:528
	global_load_dwordx4 v[114:117], v[120:121], off offset:512
	global_load_dwordx4 v[132:135], v[120:121], off offset:496
	v_fma_f64 v[152:153], v[118:119], v[129:130], v[104:105]
	s_waitcnt vmcnt(0) lgkmcnt(24)
	v_mul_f64 v[104:105], v[102:103], v[134:135]
	v_fma_f64 v[130:131], v[100:101], v[132:133], -v[104:105]
	buffer_store_dword v132, off, s[28:31], 0 offset:988 ; 4-byte Folded Spill
	buffer_store_dword v133, off, s[28:31], 0 offset:992 ; 4-byte Folded Spill
	;; [unrolled: 1-line block ×16, first 2 shown]
	v_mul_f64 v[100:101], v[100:101], v[134:135]
	v_fma_f64 v[140:141], v[102:103], v[132:133], v[100:101]
	s_waitcnt lgkmcnt(23)
	v_mul_f64 v[100:101], v[98:99], v[116:117]
	v_fma_f64 v[132:133], v[96:97], v[114:115], -v[100:101]
	v_mul_f64 v[96:97], v[96:97], v[116:117]
	v_fma_f64 v[158:159], v[98:99], v[114:115], v[96:97]
	s_waitcnt lgkmcnt(22)
	v_mul_f64 v[96:97], v[94:95], v[112:113]
	v_fma_f64 v[144:145], v[92:93], v[110:111], -v[96:97]
	;; [unrolled: 5-line block ×3, first 2 shown]
	v_mul_f64 v[88:89], v[88:89], v[108:109]
	v_fma_f64 v[160:161], v[90:91], v[106:107], v[88:89]
	global_load_dwordx4 v[90:93], v[120:121], off offset:560
	s_waitcnt vmcnt(0)
	buffer_store_dword v90, off, s[28:31], 0 offset:1020 ; 4-byte Folded Spill
	buffer_store_dword v91, off, s[28:31], 0 offset:1024 ; 4-byte Folded Spill
	;; [unrolled: 1-line block ×4, first 2 shown]
	s_waitcnt lgkmcnt(20)
	v_mul_f64 v[88:89], v[86:87], v[92:93]
	v_fma_f64 v[148:149], v[84:85], v[90:91], -v[88:89]
	v_mul_f64 v[84:85], v[84:85], v[92:93]
	v_fma_f64 v[146:147], v[86:87], v[90:91], v[84:85]
	v_mul_lo_u16 v84, 0x89, v176
	v_lshrrev_b16 v176, 12, v84
	v_mul_lo_u16 v84, v176, 30
	v_sub_nc_u16 v84, v172, v84
	v_and_b32_e32 v177, 0xff, v84
	v_mad_u64_u32 v[84:85], null, 0x90, v177, s[10:11]
	s_clause 0x3
	global_load_dwordx4 v[88:91], v[84:85], off offset:480
	global_load_dwordx4 v[92:95], v[84:85], off offset:464
	;; [unrolled: 1-line block ×4, first 2 shown]
	s_waitcnt vmcnt(0) lgkmcnt(18)
	v_mul_f64 v[86:87], v[82:83], v[102:103]
	v_fma_f64 v[120:121], v[80:81], v[100:101], -v[86:87]
	buffer_store_dword v100, off, s[28:31], 0 offset:1068 ; 4-byte Folded Spill
	buffer_store_dword v101, off, s[28:31], 0 offset:1072 ; 4-byte Folded Spill
	buffer_store_dword v102, off, s[28:31], 0 offset:1076 ; 4-byte Folded Spill
	buffer_store_dword v103, off, s[28:31], 0 offset:1080 ; 4-byte Folded Spill
	buffer_store_dword v96, off, s[28:31], 0 offset:1100 ; 4-byte Folded Spill
	buffer_store_dword v97, off, s[28:31], 0 offset:1104 ; 4-byte Folded Spill
	buffer_store_dword v98, off, s[28:31], 0 offset:1108 ; 4-byte Folded Spill
	buffer_store_dword v99, off, s[28:31], 0 offset:1112 ; 4-byte Folded Spill
	buffer_store_dword v92, off, s[28:31], 0 offset:1116 ; 4-byte Folded Spill
	buffer_store_dword v93, off, s[28:31], 0 offset:1120 ; 4-byte Folded Spill
	buffer_store_dword v94, off, s[28:31], 0 offset:1124 ; 4-byte Folded Spill
	buffer_store_dword v95, off, s[28:31], 0 offset:1128 ; 4-byte Folded Spill
	buffer_store_dword v88, off, s[28:31], 0 offset:1084 ; 4-byte Folded Spill
	buffer_store_dword v89, off, s[28:31], 0 offset:1088 ; 4-byte Folded Spill
	buffer_store_dword v90, off, s[28:31], 0 offset:1092 ; 4-byte Folded Spill
	buffer_store_dword v91, off, s[28:31], 0 offset:1096 ; 4-byte Folded Spill
	v_mul_f64 v[80:81], v[80:81], v[102:103]
	v_fma_f64 v[80:81], v[82:83], v[100:101], v[80:81]
	s_waitcnt lgkmcnt(17)
	v_mul_f64 v[82:83], v[78:79], v[98:99]
	v_fma_f64 v[82:83], v[76:77], v[96:97], -v[82:83]
	v_mul_f64 v[76:77], v[76:77], v[98:99]
	v_fma_f64 v[78:79], v[78:79], v[96:97], v[76:77]
	s_waitcnt lgkmcnt(16)
	v_mul_f64 v[76:77], v[74:75], v[94:95]
	v_fma_f64 v[76:77], v[72:73], v[92:93], -v[76:77]
	;; [unrolled: 5-line block ×3, first 2 shown]
	v_mul_f64 v[68:69], v[68:69], v[90:91]
	v_fma_f64 v[70:71], v[70:71], v[88:89], v[68:69]
	s_clause 0x3
	global_load_dwordx4 v[86:89], v[84:85], off offset:544
	global_load_dwordx4 v[90:93], v[84:85], off offset:528
	;; [unrolled: 1-line block ×4, first 2 shown]
	s_waitcnt vmcnt(0) lgkmcnt(14)
	v_mul_f64 v[68:69], v[66:67], v[100:101]
	v_fma_f64 v[68:69], v[64:65], v[98:99], -v[68:69]
	buffer_store_dword v98, off, s[28:31], 0 offset:1164 ; 4-byte Folded Spill
	buffer_store_dword v99, off, s[28:31], 0 offset:1168 ; 4-byte Folded Spill
	;; [unrolled: 1-line block ×16, first 2 shown]
	v_mul_f64 v[64:65], v[64:65], v[100:101]
	v_fma_f64 v[64:65], v[66:67], v[98:99], v[64:65]
	s_waitcnt lgkmcnt(13)
	v_mul_f64 v[66:67], v[62:63], v[96:97]
	v_fma_f64 v[66:67], v[60:61], v[94:95], -v[66:67]
	v_mul_f64 v[60:61], v[60:61], v[96:97]
	v_fma_f64 v[62:63], v[62:63], v[94:95], v[60:61]
	s_waitcnt lgkmcnt(12)
	v_mul_f64 v[60:61], v[58:59], v[92:93]
	v_fma_f64 v[60:61], v[56:57], v[90:91], -v[60:61]
	;; [unrolled: 5-line block ×3, first 2 shown]
	v_mul_f64 v[52:53], v[52:53], v[88:89]
	v_fma_f64 v[54:55], v[54:55], v[86:87], v[52:53]
	global_load_dwordx4 v[84:87], v[84:85], off offset:560
	s_waitcnt vmcnt(0) lgkmcnt(10)
	v_mul_f64 v[52:53], v[50:51], v[86:87]
	v_fma_f64 v[52:53], v[48:49], v[84:85], -v[52:53]
	buffer_store_dword v84, off, s[28:31], 0 offset:1260 ; 4-byte Folded Spill
	buffer_store_dword v85, off, s[28:31], 0 offset:1264 ; 4-byte Folded Spill
	;; [unrolled: 1-line block ×4, first 2 shown]
	v_mul_f64 v[48:49], v[48:49], v[86:87]
	v_fma_f64 v[48:49], v[50:51], v[84:85], v[48:49]
	v_mov_b32_e32 v50, 0x8889
	v_mul_u32_u24_sdwa v50, v173, v50 dst_sel:DWORD dst_unused:UNUSED_PAD src0_sel:WORD_0 src1_sel:DWORD
	v_lshrrev_b32_e32 v178, 20, v50
	v_mul_lo_u16 v50, v178, 30
	v_sub_nc_u16 v179, v173, v50
	v_mul_lo_u16 v50, 0x90, v179
	v_and_b32_e32 v50, 0xffff, v50
	v_add_co_u32 v50, s26, s10, v50
	v_add_co_ci_u32_e64 v51, null, s11, 0, s26
	s_clause 0x3
	global_load_dwordx4 v[90:93], v[50:51], off offset:480
	global_load_dwordx4 v[86:89], v[50:51], off offset:464
	;; [unrolled: 1-line block ×4, first 2 shown]
	s_waitcnt vmcnt(0) lgkmcnt(8)
	v_mul_f64 v[84:85], v[42:43], v[104:105]
	v_fma_f64 v[100:101], v[40:41], v[102:103], -v[84:85]
	buffer_store_dword v102, off, s[28:31], 0 offset:1308 ; 4-byte Folded Spill
	buffer_store_dword v103, off, s[28:31], 0 offset:1312 ; 4-byte Folded Spill
	buffer_store_dword v104, off, s[28:31], 0 offset:1316 ; 4-byte Folded Spill
	buffer_store_dword v105, off, s[28:31], 0 offset:1320 ; 4-byte Folded Spill
	buffer_store_dword v94, off, s[28:31], 0 offset:1324 ; 4-byte Folded Spill
	buffer_store_dword v95, off, s[28:31], 0 offset:1328 ; 4-byte Folded Spill
	buffer_store_dword v96, off, s[28:31], 0 offset:1332 ; 4-byte Folded Spill
	buffer_store_dword v97, off, s[28:31], 0 offset:1336 ; 4-byte Folded Spill
	v_mul_f64 v[40:41], v[40:41], v[104:105]
	v_fma_f64 v[84:85], v[42:43], v[102:103], v[40:41]
	s_waitcnt lgkmcnt(7)
	v_mul_f64 v[40:41], v[38:39], v[96:97]
	v_fma_f64 v[108:109], v[36:37], v[94:95], -v[40:41]
	v_mul_f64 v[36:37], v[36:37], v[96:97]
	v_fma_f64 v[104:105], v[38:39], v[94:95], v[36:37]
	v_mov_b32_e32 v38, v86
	v_mov_b32_e32 v39, v87
	;; [unrolled: 1-line block ×4, first 2 shown]
	buffer_store_dword v38, off, s[28:31], 0 offset:1340 ; 4-byte Folded Spill
	buffer_store_dword v39, off, s[28:31], 0 offset:1344 ; 4-byte Folded Spill
	;; [unrolled: 1-line block ×8, first 2 shown]
	s_waitcnt lgkmcnt(6)
	v_mul_f64 v[36:37], v[34:35], v[40:41]
	v_fma_f64 v[88:89], v[32:33], v[38:39], -v[36:37]
	v_mul_f64 v[32:33], v[32:33], v[40:41]
	v_fma_f64 v[86:87], v[34:35], v[38:39], v[32:33]
	s_waitcnt lgkmcnt(5)
	v_mul_f64 v[32:33], v[30:31], v[92:93]
	v_fma_f64 v[110:111], v[28:29], v[90:91], -v[32:33]
	v_mul_f64 v[28:29], v[28:29], v[92:93]
	v_fma_f64 v[106:107], v[30:31], v[90:91], v[28:29]
	s_clause 0x3
	global_load_dwordx4 v[30:33], v[50:51], off offset:544
	global_load_dwordx4 v[34:37], v[50:51], off offset:528
	;; [unrolled: 1-line block ×4, first 2 shown]
	s_waitcnt vmcnt(0) lgkmcnt(4)
	v_mul_f64 v[28:29], v[26:27], v[96:97]
	v_fma_f64 v[92:93], v[24:25], v[94:95], -v[28:29]
	buffer_store_dword v94, off, s[28:31], 0 offset:1404 ; 4-byte Folded Spill
	buffer_store_dword v95, off, s[28:31], 0 offset:1408 ; 4-byte Folded Spill
	buffer_store_dword v96, off, s[28:31], 0 offset:1412 ; 4-byte Folded Spill
	buffer_store_dword v97, off, s[28:31], 0 offset:1416 ; 4-byte Folded Spill
	buffer_store_dword v38, off, s[28:31], 0 offset:1420 ; 4-byte Folded Spill
	buffer_store_dword v39, off, s[28:31], 0 offset:1424 ; 4-byte Folded Spill
	buffer_store_dword v40, off, s[28:31], 0 offset:1428 ; 4-byte Folded Spill
	buffer_store_dword v41, off, s[28:31], 0 offset:1432 ; 4-byte Folded Spill
	buffer_store_dword v34, off, s[28:31], 0 offset:1436 ; 4-byte Folded Spill
	buffer_store_dword v35, off, s[28:31], 0 offset:1440 ; 4-byte Folded Spill
	buffer_store_dword v36, off, s[28:31], 0 offset:1444 ; 4-byte Folded Spill
	buffer_store_dword v37, off, s[28:31], 0 offset:1448 ; 4-byte Folded Spill
	buffer_store_dword v30, off, s[28:31], 0 offset:1452 ; 4-byte Folded Spill
	buffer_store_dword v31, off, s[28:31], 0 offset:1456 ; 4-byte Folded Spill
	buffer_store_dword v32, off, s[28:31], 0 offset:1460 ; 4-byte Folded Spill
	buffer_store_dword v33, off, s[28:31], 0 offset:1464 ; 4-byte Folded Spill
	v_mul_f64 v[24:25], v[24:25], v[96:97]
	v_fma_f64 v[90:91], v[26:27], v[94:95], v[24:25]
	s_waitcnt lgkmcnt(3)
	v_mul_f64 v[24:25], v[22:23], v[40:41]
	v_fma_f64 v[116:117], v[20:21], v[38:39], -v[24:25]
	v_mul_f64 v[20:21], v[20:21], v[40:41]
	v_fma_f64 v[112:113], v[22:23], v[38:39], v[20:21]
	s_waitcnt lgkmcnt(2)
	v_mul_f64 v[20:21], v[18:19], v[36:37]
	v_fma_f64 v[96:97], v[16:17], v[34:35], -v[20:21]
	v_mul_f64 v[16:17], v[16:17], v[36:37]
	v_add_f64 v[20:21], v[136:137], -v[146:147]
	v_fma_f64 v[94:95], v[18:19], v[34:35], v[16:17]
	s_waitcnt lgkmcnt(1)
	v_mul_f64 v[16:17], v[14:15], v[32:33]
	v_add_f64 v[18:19], v[134:135], -v[132:133]
	v_fma_f64 v[118:119], v[12:13], v[30:31], -v[16:17]
	v_mul_f64 v[12:13], v[12:13], v[32:33]
	v_fma_f64 v[114:115], v[14:15], v[30:31], v[12:13]
	global_load_dwordx4 v[14:17], v[50:51], off offset:560
	s_waitcnt vmcnt(0)
	buffer_store_dword v14, off, s[28:31], 0 offset:1484 ; 4-byte Folded Spill
	buffer_store_dword v15, off, s[28:31], 0 offset:1488 ; 4-byte Folded Spill
	;; [unrolled: 1-line block ×4, first 2 shown]
	s_waitcnt lgkmcnt(0)
	s_waitcnt_vscnt null, 0x0
	s_barrier
	buffer_gl0_inv
	v_mul_f64 v[12:13], v[10:11], v[16:17]
	v_fma_f64 v[102:103], v[8:9], v[14:15], -v[12:13]
	v_mul_f64 v[8:9], v[8:9], v[16:17]
	v_add_f64 v[16:17], v[154:155], -v[156:157]
	v_fma_f64 v[98:99], v[10:11], v[14:15], v[8:9]
	v_add_f64 v[8:9], v[4:5], v[154:155]
	v_add_f64 v[10:11], v[150:151], -v[160:161]
	v_add_f64 v[14:15], v[152:153], -v[158:159]
	v_add_f64 v[16:17], v[16:17], v[18:19]
	v_add_f64 v[18:19], v[146:147], -v[136:137]
	v_add_f64 v[8:9], v[8:9], v[156:157]
	v_add_f64 v[8:9], v[8:9], v[132:133]
	;; [unrolled: 1-line block ×4, first 2 shown]
	v_fma_f64 v[8:9], v[8:9], -0.5, v[4:5]
	v_fma_f64 v[12:13], v[10:11], s[6:7], v[8:9]
	v_fma_f64 v[8:9], v[10:11], s[16:17], v[8:9]
	;; [unrolled: 1-line block ×6, first 2 shown]
	v_add_f64 v[8:9], v[154:155], v[134:135]
	v_add_f64 v[12:13], v[156:157], -v[154:155]
	v_add_f64 v[16:17], v[132:133], -v[134:135]
	v_fma_f64 v[4:5], v[8:9], -0.5, v[4:5]
	v_add_f64 v[12:13], v[12:13], v[16:17]
	v_add_f64 v[16:17], v[160:161], -v[158:159]
	v_fma_f64 v[8:9], v[14:15], s[16:17], v[4:5]
	v_fma_f64 v[4:5], v[14:15], s[6:7], v[4:5]
	v_add_f64 v[14:15], v[150:151], -v[152:153]
	v_fma_f64 v[8:9], v[10:11], s[8:9], v[8:9]
	v_fma_f64 v[4:5], v[10:11], s[18:19], v[4:5]
	v_add_f64 v[14:15], v[14:15], v[16:17]
	v_add_f64 v[16:17], v[144:145], -v[148:149]
	v_fma_f64 v[32:33], v[12:13], s[14:15], v[8:9]
	v_fma_f64 v[50:51], v[12:13], s[14:15], v[4:5]
	v_add_f64 v[4:5], v[6:7], v[150:151]
	v_add_f64 v[8:9], v[154:155], -v[134:135]
	v_add_f64 v[12:13], v[156:157], -v[132:133]
	v_add_f64 v[4:5], v[4:5], v[152:153]
	v_add_f64 v[4:5], v[4:5], v[158:159]
	;; [unrolled: 1-line block ×4, first 2 shown]
	v_fma_f64 v[4:5], v[4:5], -0.5, v[6:7]
	v_fma_f64 v[10:11], v[8:9], s[16:17], v[4:5]
	v_fma_f64 v[4:5], v[8:9], s[6:7], v[4:5]
	;; [unrolled: 1-line block ×6, first 2 shown]
	v_add_f64 v[4:5], v[150:151], v[160:161]
	v_add_f64 v[10:11], v[152:153], -v[150:151]
	v_add_f64 v[14:15], v[158:159], -v[160:161]
	v_fma_f64 v[4:5], v[4:5], -0.5, v[6:7]
	v_add_f64 v[10:11], v[10:11], v[14:15]
	v_add_f64 v[14:15], v[148:149], -v[144:145]
	v_fma_f64 v[6:7], v[12:13], s[6:7], v[4:5]
	v_fma_f64 v[4:5], v[12:13], s[16:17], v[4:5]
	v_add_f64 v[12:13], v[126:127], -v[130:131]
	v_fma_f64 v[6:7], v[8:9], s[18:19], v[6:7]
	v_fma_f64 v[4:5], v[8:9], s[8:9], v[4:5]
	v_add_f64 v[12:13], v[12:13], v[14:15]
	v_fma_f64 v[34:35], v[10:11], s[14:15], v[6:7]
	v_fma_f64 v[30:31], v[10:11], s[14:15], v[4:5]
	v_add_f64 v[4:5], v[138:139], v[126:127]
	v_add_f64 v[6:7], v[124:125], -v[146:147]
	v_add_f64 v[10:11], v[140:141], -v[136:137]
	v_add_f64 v[4:5], v[4:5], v[130:131]
	v_add_f64 v[4:5], v[4:5], v[144:145]
	;; [unrolled: 1-line block ×4, first 2 shown]
	v_fma_f64 v[4:5], v[4:5], -0.5, v[138:139]
	v_fma_f64 v[8:9], v[6:7], s[6:7], v[4:5]
	v_fma_f64 v[4:5], v[6:7], s[16:17], v[4:5]
	;; [unrolled: 1-line block ×6, first 2 shown]
	v_add_f64 v[4:5], v[126:127], v[148:149]
	v_add_f64 v[12:13], v[130:131], -v[126:127]
	v_fma_f64 v[4:5], v[4:5], -0.5, v[138:139]
	v_add_f64 v[12:13], v[12:13], v[16:17]
	v_add_f64 v[16:17], v[124:125], -v[140:141]
	v_fma_f64 v[8:9], v[10:11], s[16:17], v[4:5]
	v_fma_f64 v[4:5], v[10:11], s[6:7], v[4:5]
	v_add_f64 v[16:17], v[16:17], v[18:19]
	v_add_f64 v[18:19], v[140:141], -v[124:125]
	v_fma_f64 v[8:9], v[6:7], s[8:9], v[8:9]
	v_fma_f64 v[4:5], v[6:7], s[18:19], v[4:5]
	v_add_f64 v[18:19], v[18:19], v[20:21]
	v_add_f64 v[20:21], v[24:25], v[36:37]
	v_fma_f64 v[132:133], v[12:13], s[14:15], v[8:9]
	v_fma_f64 v[6:7], v[12:13], s[14:15], v[4:5]
	v_add_f64 v[4:5], v[122:123], v[124:125]
	v_add_f64 v[8:9], v[126:127], -v[148:149]
	v_add_f64 v[12:13], v[130:131], -v[144:145]
	v_add_f64 v[4:5], v[4:5], v[140:141]
	v_add_f64 v[4:5], v[4:5], v[136:137]
	;; [unrolled: 1-line block ×5, first 2 shown]
	v_fma_f64 v[4:5], v[4:5], -0.5, v[122:123]
	v_fma_f64 v[10:11], v[8:9], s[16:17], v[4:5]
	v_fma_f64 v[4:5], v[8:9], s[6:7], v[4:5]
	v_fma_f64 v[10:11], v[12:13], s[18:19], v[10:11]
	v_fma_f64 v[4:5], v[12:13], s[8:9], v[4:5]
	v_fma_f64 v[10:11], v[16:17], s[14:15], v[10:11]
	v_fma_f64 v[126:127], v[16:17], s[14:15], v[4:5]
	v_add_f64 v[4:5], v[124:125], v[146:147]
	v_fma_f64 v[4:5], v[4:5], -0.5, v[122:123]
	v_fma_f64 v[16:17], v[12:13], s[6:7], v[4:5]
	v_fma_f64 v[4:5], v[12:13], s[16:17], v[4:5]
	;; [unrolled: 1-line block ×6, first 2 shown]
	v_mul_f64 v[4:5], v[10:11], s[8:9]
	v_fma_f64 v[129:130], v[14:15], s[20:21], v[4:5]
	v_mul_f64 v[14:15], v[14:15], s[18:19]
	v_mul_f64 v[4:5], v[122:123], s[6:7]
	v_add_f64 v[16:17], v[28:29], v[129:130]
	v_fma_f64 v[144:145], v[10:11], s[20:21], v[14:15]
	v_mul_f64 v[10:11], v[132:133], s[16:17]
	v_fma_f64 v[136:137], v[132:133], s[14:15], v[4:5]
	v_mul_f64 v[4:5], v[6:7], s[22:23]
	v_add_f64 v[131:132], v[70:71], -v[62:63]
	v_add_f64 v[18:19], v[38:39], v[144:145]
	v_fma_f64 v[122:123], v[122:123], s[14:15], v[10:11]
	v_mul_f64 v[10:11], v[124:125], s[22:23]
	v_fma_f64 v[138:139], v[124:125], s[6:7], v[4:5]
	v_mul_f64 v[4:5], v[40:41], s[24:25]
	v_add_f64 v[12:13], v[32:33], v[136:137]
	v_add_f64 v[32:33], v[32:33], -v[136:137]
	v_add_f64 v[38:39], v[38:39], -v[144:145]
	v_add_f64 v[14:15], v[34:35], v[122:123]
	v_fma_f64 v[124:125], v[6:7], s[16:17], v[10:11]
	v_mul_f64 v[6:7], v[126:127], s[24:25]
	v_add_f64 v[8:9], v[50:51], v[138:139]
	v_fma_f64 v[140:141], v[126:127], s[8:9], v[4:5]
	v_add_f64 v[34:35], v[34:35], -v[122:123]
	v_add_f64 v[122:123], v[78:79], -v[54:55]
	v_add_f64 v[10:11], v[30:31], v[124:125]
	v_fma_f64 v[126:127], v[40:41], s[18:19], v[6:7]
	v_add_f64 v[40:41], v[24:25], -v[36:37]
	v_add_f64 v[36:37], v[28:29], -v[129:130]
	;; [unrolled: 1-line block ×3, first 2 shown]
	v_add_f64 v[50:51], v[44:45], v[82:83]
	v_add_f64 v[30:31], v[30:31], -v[124:125]
	v_add_f64 v[4:5], v[42:43], v[140:141]
	v_add_f64 v[24:25], v[42:43], -v[140:141]
	v_add_f64 v[42:43], v[180:181], -v[134:135]
	;; [unrolled: 1-line block ×5, first 2 shown]
	v_add_f64 v[6:7], v[26:27], v[126:127]
	v_add_f64 v[26:27], v[26:27], -v[126:127]
	v_add_f64 v[50:51], v[50:51], v[74:75]
	v_add_f64 v[129:130], v[129:130], v[133:134]
	v_add_f64 v[133:134], v[74:75], -v[82:83]
	v_add_f64 v[50:51], v[50:51], v[66:67]
	v_add_f64 v[133:134], v[133:134], v[135:136]
	;; [unrolled: 1-line block ×4, first 2 shown]
	v_fma_f64 v[50:51], v[50:51], -0.5, v[44:45]
	v_fma_f64 v[126:127], v[122:123], s[6:7], v[50:51]
	v_fma_f64 v[50:51], v[122:123], s[16:17], v[50:51]
	;; [unrolled: 1-line block ×6, first 2 shown]
	v_add_f64 v[50:51], v[82:83], v[58:59]
	v_fma_f64 v[44:45], v[50:51], -0.5, v[44:45]
	v_fma_f64 v[50:51], v[131:132], s[16:17], v[44:45]
	v_fma_f64 v[44:45], v[131:132], s[6:7], v[44:45]
	;; [unrolled: 1-line block ×6, first 2 shown]
	v_add_f64 v[44:45], v[46:47], v[78:79]
	v_add_f64 v[50:51], v[82:83], -v[58:59]
	v_add_f64 v[82:83], v[74:75], -v[66:67]
	;; [unrolled: 1-line block ×4, first 2 shown]
	v_add_f64 v[44:45], v[44:45], v[70:71]
	v_add_f64 v[66:67], v[66:67], v[74:75]
	v_add_f64 v[44:45], v[44:45], v[62:63]
	v_add_f64 v[133:134], v[44:45], v[54:55]
	v_add_f64 v[44:45], v[70:71], v[62:63]
	v_fma_f64 v[44:45], v[44:45], -0.5, v[46:47]
	v_fma_f64 v[58:59], v[50:51], s[16:17], v[44:45]
	v_fma_f64 v[44:45], v[50:51], s[6:7], v[44:45]
	;; [unrolled: 1-line block ×6, first 2 shown]
	v_add_f64 v[44:45], v[78:79], v[54:55]
	v_add_f64 v[58:59], v[70:71], -v[78:79]
	v_add_f64 v[54:55], v[62:63], -v[54:55]
	;; [unrolled: 1-line block ×3, first 2 shown]
	v_fma_f64 v[44:45], v[44:45], -0.5, v[46:47]
	v_add_f64 v[54:55], v[58:59], v[54:55]
	v_add_f64 v[58:59], v[76:77], -v[68:69]
	v_fma_f64 v[46:47], v[82:83], s[6:7], v[44:45]
	v_fma_f64 v[44:45], v[82:83], s[16:17], v[44:45]
	v_add_f64 v[58:59], v[58:59], v[62:63]
	v_add_f64 v[62:63], v[68:69], -v[76:77]
	v_fma_f64 v[46:47], v[50:51], s[18:19], v[46:47]
	v_fma_f64 v[44:45], v[50:51], s[8:9], v[44:45]
	;; [unrolled: 1-line block ×4, first 2 shown]
	v_add_f64 v[44:45], v[120:121], v[76:77]
	v_add_f64 v[46:47], v[72:73], -v[48:49]
	v_add_f64 v[54:55], v[64:65], -v[56:57]
	v_add_f64 v[44:45], v[44:45], v[68:69]
	v_add_f64 v[44:45], v[44:45], v[60:61]
	v_add_f64 v[78:79], v[44:45], v[52:53]
	v_add_f64 v[44:45], v[68:69], v[60:61]
	v_fma_f64 v[44:45], v[44:45], -0.5, v[120:121]
	v_fma_f64 v[50:51], v[46:47], s[6:7], v[44:45]
	v_fma_f64 v[44:45], v[46:47], s[16:17], v[44:45]
	;; [unrolled: 1-line block ×6, first 2 shown]
	v_add_f64 v[44:45], v[76:77], v[52:53]
	v_fma_f64 v[44:45], v[44:45], -0.5, v[120:121]
	v_add_f64 v[120:121], v[60:61], -v[52:53]
	v_add_f64 v[52:53], v[76:77], -v[52:53]
	v_fma_f64 v[58:59], v[54:55], s[16:17], v[44:45]
	v_fma_f64 v[44:45], v[54:55], s[6:7], v[44:45]
	v_add_f64 v[62:63], v[62:63], v[120:121]
	v_fma_f64 v[58:59], v[46:47], s[8:9], v[58:59]
	v_fma_f64 v[44:45], v[46:47], s[18:19], v[44:45]
	;; [unrolled: 1-line block ×4, first 2 shown]
	v_add_f64 v[44:45], v[80:81], v[72:73]
	v_add_f64 v[58:59], v[68:69], -v[60:61]
	v_add_f64 v[60:61], v[72:73], -v[64:65]
	;; [unrolled: 1-line block ×3, first 2 shown]
	v_add_f64 v[44:45], v[44:45], v[64:65]
	v_add_f64 v[60:61], v[60:61], v[62:63]
	v_add_f64 v[62:63], v[64:65], -v[72:73]
	v_add_f64 v[44:45], v[44:45], v[56:57]
	v_add_f64 v[137:138], v[44:45], v[48:49]
	;; [unrolled: 1-line block ×3, first 2 shown]
	v_fma_f64 v[44:45], v[44:45], -0.5, v[80:81]
	v_fma_f64 v[54:55], v[52:53], s[16:17], v[44:45]
	v_fma_f64 v[44:45], v[52:53], s[6:7], v[44:45]
	;; [unrolled: 1-line block ×6, first 2 shown]
	v_add_f64 v[44:45], v[72:73], v[48:49]
	v_add_f64 v[48:49], v[56:57], -v[48:49]
	v_fma_f64 v[44:45], v[44:45], -0.5, v[80:81]
	v_add_f64 v[48:49], v[62:63], v[48:49]
	v_add_f64 v[80:81], v[124:125], -v[78:79]
	v_add_f64 v[62:63], v[133:134], v[137:138]
	v_fma_f64 v[60:61], v[58:59], s[6:7], v[44:45]
	v_fma_f64 v[44:45], v[58:59], s[16:17], v[44:45]
	;; [unrolled: 1-line block ×6, first 2 shown]
	v_mul_f64 v[44:45], v[54:55], s[8:9]
	v_add_f64 v[60:61], v[124:125], v[78:79]
	v_fma_f64 v[76:77], v[50:51], s[20:21], v[44:45]
	v_mul_f64 v[50:51], v[50:51], s[18:19]
	v_mul_f64 v[44:45], v[64:65], s[6:7]
	v_add_f64 v[56:57], v[126:127], v[76:77]
	v_fma_f64 v[148:149], v[54:55], s[20:21], v[50:51]
	v_mul_f64 v[50:51], v[120:121], s[16:17]
	v_fma_f64 v[139:140], v[120:121], s[14:15], v[44:45]
	v_mul_f64 v[44:45], v[46:47], s[22:23]
	v_add_f64 v[76:77], v[126:127], -v[76:77]
	v_add_f64 v[58:59], v[122:123], v[148:149]
	v_fma_f64 v[120:121], v[64:65], s[14:15], v[50:51]
	v_mul_f64 v[50:51], v[72:73], s[22:23]
	v_fma_f64 v[144:145], v[72:73], s[6:7], v[44:45]
	v_mul_f64 v[44:45], v[82:83], s[24:25]
	v_add_f64 v[78:79], v[122:123], -v[148:149]
	v_add_f64 v[122:123], v[104:105], -v[114:115]
	v_add_f64 v[52:53], v[135:136], v[139:140]
	v_add_f64 v[72:73], v[135:136], -v[139:140]
	v_add_f64 v[135:136], v[116:117], -v[118:119]
	v_add_f64 v[54:55], v[74:75], v[120:121]
	v_add_f64 v[74:75], v[74:75], -v[120:121]
	v_add_f64 v[120:121], v[0:1], v[108:109]
	v_fma_f64 v[146:147], v[68:69], s[8:9], v[44:45]
	v_fma_f64 v[150:151], v[46:47], s[16:17], v[50:51]
	v_mul_f64 v[46:47], v[68:69], s[24:25]
	v_add_f64 v[48:49], v[131:132], v[144:145]
	v_add_f64 v[68:69], v[131:132], -v[144:145]
	v_add_f64 v[131:132], v[106:107], -v[112:113]
	v_add_f64 v[120:121], v[120:121], v[110:111]
	v_add_f64 v[44:45], v[129:130], v[146:147]
	v_add_f64 v[64:65], v[129:130], -v[146:147]
	v_fma_f64 v[152:153], v[82:83], s[18:19], v[46:47]
	v_add_f64 v[82:83], v[133:134], -v[137:138]
	v_add_f64 v[129:130], v[108:109], -v[110:111]
	;; [unrolled: 1-line block ×3, first 2 shown]
	v_add_f64 v[50:51], v[70:71], v[150:151]
	v_add_f64 v[70:71], v[70:71], -v[150:151]
	v_add_f64 v[120:121], v[120:121], v[116:117]
	v_add_f64 v[46:47], v[66:67], v[152:153]
	v_add_f64 v[66:67], v[66:67], -v[152:153]
	v_add_f64 v[129:130], v[129:130], v[133:134]
	v_add_f64 v[133:134], v[110:111], -v[108:109]
	v_add_f64 v[124:125], v[120:121], v[118:119]
	v_add_f64 v[120:121], v[110:111], v[116:117]
	v_add_f64 v[116:117], v[110:111], -v[116:117]
	v_add_f64 v[133:134], v[133:134], v[135:136]
	v_fma_f64 v[120:121], v[120:121], -0.5, v[0:1]
	v_fma_f64 v[126:127], v[122:123], s[6:7], v[120:121]
	v_fma_f64 v[120:121], v[122:123], s[16:17], v[120:121]
	;; [unrolled: 1-line block ×6, first 2 shown]
	v_add_f64 v[120:121], v[108:109], v[118:119]
	v_add_f64 v[108:109], v[108:109], -v[118:119]
	v_fma_f64 v[0:1], v[120:121], -0.5, v[0:1]
	v_fma_f64 v[120:121], v[131:132], s[16:17], v[0:1]
	v_fma_f64 v[0:1], v[131:132], s[6:7], v[0:1]
	;; [unrolled: 1-line block ×6, first 2 shown]
	v_add_f64 v[0:1], v[2:3], v[104:105]
	v_add_f64 v[120:121], v[114:115], -v[112:113]
	v_add_f64 v[0:1], v[0:1], v[106:107]
	v_add_f64 v[0:1], v[0:1], v[112:113]
	;; [unrolled: 1-line block ×4, first 2 shown]
	v_fma_f64 v[0:1], v[0:1], -0.5, v[2:3]
	v_fma_f64 v[118:119], v[108:109], s[16:17], v[0:1]
	v_fma_f64 v[0:1], v[108:109], s[6:7], v[0:1]
	;; [unrolled: 1-line block ×3, first 2 shown]
	v_add_f64 v[118:119], v[104:105], -v[106:107]
	v_fma_f64 v[0:1], v[116:117], s[8:9], v[0:1]
	v_add_f64 v[118:119], v[118:119], v[120:121]
	v_fma_f64 v[120:121], v[118:119], s[14:15], v[0:1]
	v_add_f64 v[0:1], v[104:105], v[114:115]
	v_add_f64 v[104:105], v[106:107], -v[104:105]
	v_add_f64 v[106:107], v[112:113], -v[114:115]
	v_fma_f64 v[122:123], v[118:119], s[14:15], v[110:111]
	v_add_f64 v[112:113], v[90:91], -v[94:95]
	v_add_f64 v[114:115], v[88:89], -v[92:93]
	;; [unrolled: 1-line block ×3, first 2 shown]
	v_fma_f64 v[0:1], v[0:1], -0.5, v[2:3]
	v_add_f64 v[104:105], v[104:105], v[106:107]
	v_fma_f64 v[2:3], v[116:117], s[6:7], v[0:1]
	v_fma_f64 v[0:1], v[116:117], s[16:17], v[0:1]
	v_add_f64 v[116:117], v[102:103], -v[96:97]
	v_fma_f64 v[2:3], v[108:109], s[18:19], v[2:3]
	v_fma_f64 v[0:1], v[108:109], s[8:9], v[0:1]
	v_add_f64 v[114:115], v[114:115], v[116:117]
	v_add_f64 v[116:117], v[92:93], -v[88:89]
	v_fma_f64 v[110:111], v[104:105], s[14:15], v[2:3]
	v_fma_f64 v[106:107], v[104:105], s[14:15], v[0:1]
	v_add_f64 v[0:1], v[100:101], v[88:89]
	v_add_f64 v[2:3], v[86:87], -v[98:99]
	v_add_f64 v[116:117], v[116:117], v[118:119]
	v_add_f64 v[0:1], v[0:1], v[92:93]
	;; [unrolled: 1-line block ×5, first 2 shown]
	v_add_f64 v[92:93], v[92:93], -v[96:97]
	v_fma_f64 v[0:1], v[0:1], -0.5, v[100:101]
	v_fma_f64 v[108:109], v[2:3], s[6:7], v[0:1]
	v_fma_f64 v[0:1], v[2:3], s[16:17], v[0:1]
	v_fma_f64 v[108:109], v[112:113], s[8:9], v[108:109]
	v_fma_f64 v[0:1], v[112:113], s[18:19], v[0:1]
	v_fma_f64 v[108:109], v[114:115], s[14:15], v[108:109]
	v_fma_f64 v[114:115], v[114:115], s[14:15], v[0:1]
	v_add_f64 v[0:1], v[88:89], v[102:103]
	v_add_f64 v[88:89], v[88:89], -v[102:103]
	v_fma_f64 v[0:1], v[0:1], -0.5, v[100:101]
	v_fma_f64 v[100:101], v[112:113], s[16:17], v[0:1]
	v_fma_f64 v[0:1], v[112:113], s[6:7], v[0:1]
	v_add_f64 v[112:113], v[98:99], -v[94:95]
	v_fma_f64 v[100:101], v[2:3], s[8:9], v[100:101]
	v_fma_f64 v[0:1], v[2:3], s[18:19], v[0:1]
	;; [unrolled: 1-line block ×4, first 2 shown]
	v_add_f64 v[0:1], v[84:85], v[86:87]
	v_add_f64 v[116:117], v[124:125], -v[104:105]
	v_add_f64 v[0:1], v[0:1], v[90:91]
	v_add_f64 v[0:1], v[0:1], v[94:95]
	;; [unrolled: 1-line block ×4, first 2 shown]
	v_fma_f64 v[0:1], v[0:1], -0.5, v[84:85]
	v_fma_f64 v[102:103], v[88:89], s[16:17], v[0:1]
	v_fma_f64 v[0:1], v[88:89], s[6:7], v[0:1]
	v_fma_f64 v[96:97], v[92:93], s[18:19], v[102:103]
	v_add_f64 v[102:103], v[86:87], -v[90:91]
	v_fma_f64 v[0:1], v[92:93], s[8:9], v[0:1]
	v_add_f64 v[102:103], v[102:103], v[112:113]
	v_fma_f64 v[112:113], v[102:103], s[14:15], v[96:97]
	v_fma_f64 v[102:103], v[102:103], s[14:15], v[0:1]
	v_add_f64 v[0:1], v[86:87], v[98:99]
	v_add_f64 v[86:87], v[90:91], -v[86:87]
	v_add_f64 v[90:91], v[94:95], -v[98:99]
	v_mul_f64 v[94:95], v[108:109], s[18:19]
	v_add_f64 v[96:97], v[124:125], v[104:105]
	v_add_f64 v[98:99], v[133:134], v[118:119]
	v_add_f64 v[118:119], v[133:134], -v[118:119]
	v_fma_f64 v[0:1], v[0:1], -0.5, v[84:85]
	v_add_f64 v[86:87], v[86:87], v[90:91]
	v_fma_f64 v[148:149], v[112:113], s[20:21], v[94:95]
	v_fma_f64 v[84:85], v[92:93], s[6:7], v[0:1]
	;; [unrolled: 1-line block ×3, first 2 shown]
	v_add_f64 v[94:95], v[122:123], v[148:149]
	v_fma_f64 v[84:85], v[88:89], s[18:19], v[84:85]
	v_fma_f64 v[0:1], v[88:89], s[8:9], v[0:1]
	;; [unrolled: 1-line block ×4, first 2 shown]
	v_mul_f64 v[0:1], v[112:113], s[8:9]
	v_fma_f64 v[137:138], v[108:109], s[20:21], v[0:1]
	v_mul_f64 v[0:1], v[90:91], s[6:7]
	v_add_f64 v[92:93], v[126:127], v[137:138]
	v_fma_f64 v[139:140], v[100:101], s[14:15], v[0:1]
	v_mul_f64 v[0:1], v[2:3], s[22:23]
	v_mul_f64 v[100:101], v[100:101], s[16:17]
	v_add_f64 v[112:113], v[126:127], -v[137:138]
	v_add_f64 v[88:89], v[135:136], v[139:140]
	v_fma_f64 v[144:145], v[86:87], s[6:7], v[0:1]
	v_mul_f64 v[86:87], v[86:87], s[22:23]
	v_mul_f64 v[0:1], v[114:115], s[24:25]
	v_fma_f64 v[150:151], v[90:91], s[14:15], v[100:101]
	v_add_f64 v[108:109], v[135:136], -v[139:140]
	v_add_f64 v[84:85], v[131:132], v[144:145]
	v_fma_f64 v[152:153], v[2:3], s[16:17], v[86:87]
	v_mul_f64 v[2:3], v[102:103], s[24:25]
	v_fma_f64 v[146:147], v[102:103], s[8:9], v[0:1]
	v_add_f64 v[90:91], v[110:111], v[150:151]
	v_add_f64 v[110:111], v[110:111], -v[150:151]
	v_add_f64 v[104:105], v[131:132], -v[144:145]
	v_add_f64 v[86:87], v[106:107], v[152:153]
	v_fma_f64 v[102:103], v[114:115], s[18:19], v[2:3]
	v_add_f64 v[0:1], v[129:130], v[146:147]
	v_add_f64 v[114:115], v[122:123], -v[148:149]
	v_add_f64 v[106:107], v[106:107], -v[152:153]
	;; [unrolled: 1-line block ×3, first 2 shown]
	v_add_f64 v[2:3], v[120:121], v[102:103]
	v_add_f64 v[102:103], v[120:121], -v[102:103]
	v_mov_b32_e32 v120, 0x12c
	v_mul_u32_u24_sdwa v121, v142, v120 dst_sel:DWORD dst_unused:UNUSED_PAD src0_sel:WORD_0 src1_sel:DWORD
	v_add_lshl_u32 v181, v121, v143, 4
	ds_write_b128 v181, v[20:23]
	ds_write_b128 v181, v[16:19] offset:480
	ds_write_b128 v181, v[12:15] offset:960
	;; [unrolled: 1-line block ×9, first 2 shown]
	v_mul_u32_u24_sdwa v4, v176, v120 dst_sel:DWORD dst_unused:UNUSED_PAD src0_sel:WORD_0 src1_sel:DWORD
	v_lshlrev_b32_e32 v120, 5, v185
	v_add_lshl_u32 v160, v4, v177, 4
	v_add_co_u32 v140, s26, s10, v120
	v_add_co_ci_u32_e64 v141, null, s11, 0, s26
	v_mad_u16 v4, 0x12c, v178, v179
	v_add_co_u32 v120, vcc_lo, 0x1290, v140
	v_add_co_ci_u32_e32 v121, vcc_lo, 0, v141, vcc_lo
	v_add_co_u32 v122, vcc_lo, 0x1000, v140
	v_lshlrev_b32_sdwa v161, v175, v4 dst_sel:DWORD dst_unused:UNUSED_PAD src0_sel:DWORD src1_sel:WORD_0
	v_add_co_ci_u32_e32 v123, vcc_lo, 0, v141, vcc_lo
	ds_write_b128 v160, v[60:63]
	ds_write_b128 v160, v[56:59] offset:480
	ds_write_b128 v160, v[52:55] offset:960
	;; [unrolled: 1-line block ×9, first 2 shown]
	ds_write_b128 v161, v[96:99]
	ds_write_b128 v161, v[92:95] offset:480
	ds_write_b128 v161, v[88:91] offset:960
	ds_write_b128 v161, v[84:87] offset:1440
	ds_write_b128 v161, v[0:3] offset:1920
	ds_write_b128 v161, v[116:119] offset:2400
	ds_write_b128 v161, v[112:115] offset:2880
	ds_write_b128 v161, v[108:111] offset:3360
	ds_write_b128 v161, v[104:107] offset:3840
	ds_write_b128 v161, v[100:103] offset:4320
	s_waitcnt lgkmcnt(0)
	s_barrier
	buffer_gl0_inv
	ds_read_b128 v[36:39], v128
	ds_read_b128 v[104:107], v128 offset:14400
	ds_read_b128 v[108:111], v128 offset:28800
	ds_read_b128 v[32:35], v128 offset:1440
	ds_read_b128 v[112:115], v128 offset:15840
	ds_read_b128 v[116:119], v128 offset:30240
	ds_read_b128 v[28:31], v128 offset:2880
	ds_read_b128 v[100:103], v128 offset:17280
	ds_read_b128 v[96:99], v128 offset:31680
	ds_read_b128 v[24:27], v128 offset:4320
	ds_read_b128 v[92:95], v128 offset:18720
	ds_read_b128 v[88:91], v128 offset:33120
	ds_read_b128 v[20:23], v128 offset:5760
	ds_read_b128 v[84:87], v128 offset:20160
	ds_read_b128 v[80:83], v128 offset:34560
	ds_read_b128 v[16:19], v128 offset:7200
	ds_read_b128 v[76:79], v128 offset:21600
	ds_read_b128 v[72:75], v128 offset:36000
	ds_read_b128 v[12:15], v128 offset:8640
	ds_read_b128 v[68:71], v128 offset:23040
	ds_read_b128 v[64:67], v128 offset:37440
	ds_read_b128 v[8:11], v128 offset:10080
	ds_read_b128 v[60:63], v128 offset:24480
	ds_read_b128 v[56:59], v128 offset:38880
	ds_read_b128 v[4:7], v128 offset:11520
	ds_read_b128 v[52:55], v128 offset:25920
	ds_read_b128 v[48:51], v128 offset:40320
	ds_read_b128 v[0:3], v128 offset:12960
	ds_read_b128 v[44:47], v128 offset:27360
	ds_read_b128 v[40:43], v128 offset:41760
	s_clause 0x1
	global_load_dwordx4 v[129:132], v[122:123], off offset:656
	global_load_dwordx4 v[122:125], v[120:121], off offset:16
	s_waitcnt vmcnt(1) lgkmcnt(28)
	v_mul_f64 v[120:121], v[106:107], v[131:132]
	v_fma_f64 v[144:145], v[104:105], v[129:130], -v[120:121]
	buffer_store_dword v129, off, s[28:31], 0 offset:1132 ; 4-byte Folded Spill
	buffer_store_dword v130, off, s[28:31], 0 offset:1136 ; 4-byte Folded Spill
	;; [unrolled: 1-line block ×4, first 2 shown]
	s_waitcnt vmcnt(0)
	buffer_store_dword v122, off, s[28:31], 0 offset:1148 ; 4-byte Folded Spill
	buffer_store_dword v123, off, s[28:31], 0 offset:1152 ; 4-byte Folded Spill
	;; [unrolled: 1-line block ×4, first 2 shown]
	v_mul_f64 v[104:105], v[104:105], v[131:132]
	v_fma_f64 v[156:157], v[106:107], v[129:130], v[104:105]
	s_waitcnt lgkmcnt(27)
	v_mul_f64 v[104:105], v[110:111], v[124:125]
	v_fma_f64 v[154:155], v[108:109], v[122:123], -v[104:105]
	v_mul_f64 v[104:105], v[108:109], v[124:125]
	v_fma_f64 v[131:132], v[110:111], v[122:123], v[104:105]
	v_lshlrev_b32_e32 v104, 5, v172
	v_add_co_u32 v127, s26, s10, v104
	v_add_co_ci_u32_e64 v135, null, s11, 0, s26
	v_add_co_u32 v104, vcc_lo, 0x1290, v127
	v_add_co_ci_u32_e32 v105, vcc_lo, 0, v135, vcc_lo
	v_add_co_u32 v106, vcc_lo, 0x1000, v127
	v_add_co_ci_u32_e32 v107, vcc_lo, 0, v135, vcc_lo
	global_load_dwordx4 v[120:123], v[106:107], off offset:656
	s_waitcnt vmcnt(0)
	buffer_store_dword v120, off, s[28:31], 0 offset:1228 ; 4-byte Folded Spill
	buffer_store_dword v121, off, s[28:31], 0 offset:1232 ; 4-byte Folded Spill
	;; [unrolled: 1-line block ×4, first 2 shown]
	global_load_dwordx4 v[106:109], v[104:105], off offset:16
	s_waitcnt vmcnt(0)
	buffer_store_dword v106, off, s[28:31], 0 offset:1244 ; 4-byte Folded Spill
	buffer_store_dword v107, off, s[28:31], 0 offset:1248 ; 4-byte Folded Spill
	;; [unrolled: 1-line block ×4, first 2 shown]
	s_waitcnt lgkmcnt(25)
	v_mul_f64 v[104:105], v[114:115], v[122:123]
	v_fma_f64 v[129:130], v[112:113], v[120:121], -v[104:105]
	v_mul_f64 v[104:105], v[112:113], v[122:123]
	v_fma_f64 v[152:153], v[114:115], v[120:121], v[104:105]
	s_waitcnt lgkmcnt(24)
	v_mul_f64 v[104:105], v[118:119], v[108:109]
	v_fma_f64 v[146:147], v[116:117], v[106:107], -v[104:105]
	v_mul_f64 v[104:105], v[116:117], v[108:109]
	v_fma_f64 v[158:159], v[118:119], v[106:107], v[104:105]
	v_lshlrev_b32_e32 v104, 5, v173
	v_add_co_u32 v172, s26, s10, v104
	v_add_co_ci_u32_e64 v173, null, s11, 0, s26
	v_add_co_u32 v104, vcc_lo, 0x1290, v172
	v_add_co_ci_u32_e32 v105, vcc_lo, 0, v173, vcc_lo
	v_add_co_u32 v106, vcc_lo, 0x1000, v172
	v_add_co_ci_u32_e32 v107, vcc_lo, 0, v173, vcc_lo
	s_clause 0x1
	global_load_dwordx4 v[110:113], v[106:107], off offset:656
	global_load_dwordx4 v[106:109], v[104:105], off offset:16
	v_cmp_gt_u16_e32 vcc_lo, 30, v165
	s_waitcnt vmcnt(1) lgkmcnt(22)
	v_mul_f64 v[104:105], v[102:103], v[112:113]
	v_fma_f64 v[119:120], v[100:101], v[110:111], -v[104:105]
	buffer_store_dword v110, off, s[28:31], 0 offset:1276 ; 4-byte Folded Spill
	buffer_store_dword v111, off, s[28:31], 0 offset:1280 ; 4-byte Folded Spill
	;; [unrolled: 1-line block ×4, first 2 shown]
	s_waitcnt vmcnt(0)
	buffer_store_dword v106, off, s[28:31], 0 offset:1292 ; 4-byte Folded Spill
	buffer_store_dword v107, off, s[28:31], 0 offset:1296 ; 4-byte Folded Spill
	;; [unrolled: 1-line block ×4, first 2 shown]
	v_mul_f64 v[100:101], v[100:101], v[112:113]
	v_fma_f64 v[138:139], v[102:103], v[110:111], v[100:101]
	s_waitcnt lgkmcnt(21)
	v_mul_f64 v[100:101], v[98:99], v[108:109]
	v_fma_f64 v[123:124], v[96:97], v[106:107], -v[100:101]
	v_mul_f64 v[96:97], v[96:97], v[108:109]
	v_fma_f64 v[148:149], v[98:99], v[106:107], v[96:97]
	v_add_co_u32 v96, s26, 0xffffffe2, v185
	v_add_co_ci_u32_e64 v97, null, 0, -1, s26
	v_cndmask_b32_e32 v96, v96, v166, vcc_lo
	v_cndmask_b32_e32 v97, v97, v174, vcc_lo
	v_lshlrev_b64 v[97:98], 5, v[96:97]
	v_add_co_u32 v99, vcc_lo, s10, v97
	v_add_co_ci_u32_e32 v100, vcc_lo, s11, v98, vcc_lo
	v_add_co_u32 v97, vcc_lo, 0x1290, v99
	v_add_co_ci_u32_e32 v98, vcc_lo, 0, v100, vcc_lo
	;; [unrolled: 2-line block ×3, first 2 shown]
	s_clause 0x1
	global_load_dwordx4 v[103:106], v[99:100], off offset:656
	global_load_dwordx4 v[99:102], v[97:98], off offset:16
	s_waitcnt vmcnt(1) lgkmcnt(19)
	v_mul_f64 v[97:98], v[94:95], v[105:106]
	v_fma_f64 v[117:118], v[92:93], v[103:104], -v[97:98]
	buffer_store_dword v103, off, s[28:31], 0 offset:1372 ; 4-byte Folded Spill
	buffer_store_dword v104, off, s[28:31], 0 offset:1376 ; 4-byte Folded Spill
	;; [unrolled: 1-line block ×4, first 2 shown]
	s_waitcnt vmcnt(0)
	buffer_store_dword v99, off, s[28:31], 0 offset:1388 ; 4-byte Folded Spill
	buffer_store_dword v100, off, s[28:31], 0 offset:1392 ; 4-byte Folded Spill
	;; [unrolled: 1-line block ×4, first 2 shown]
	v_mul_f64 v[92:93], v[92:93], v[105:106]
	v_fma_f64 v[136:137], v[94:95], v[103:104], v[92:93]
	s_waitcnt lgkmcnt(18)
	v_mul_f64 v[92:93], v[90:91], v[101:102]
	v_fma_f64 v[125:126], v[88:89], v[99:100], -v[92:93]
	v_mul_f64 v[88:89], v[88:89], v[101:102]
	v_fma_f64 v[150:151], v[90:91], v[99:100], v[88:89]
	v_add_co_u32 v88, vcc_lo, 0x1a10, v140
	v_add_co_ci_u32_e32 v89, vcc_lo, 0, v141, vcc_lo
	v_add_co_u32 v90, vcc_lo, 0x1800, v140
	v_add_co_ci_u32_e32 v91, vcc_lo, 0, v141, vcc_lo
	s_clause 0x1
	global_load_dwordx4 v[97:100], v[90:91], off offset:528
	global_load_dwordx4 v[90:93], v[88:89], off offset:16
	s_waitcnt vmcnt(1) lgkmcnt(16)
	v_mul_f64 v[88:89], v[86:87], v[99:100]
	v_fma_f64 v[107:108], v[84:85], v[97:98], -v[88:89]
	buffer_store_dword v97, off, s[28:31], 0 offset:1468 ; 4-byte Folded Spill
	buffer_store_dword v98, off, s[28:31], 0 offset:1472 ; 4-byte Folded Spill
	;; [unrolled: 1-line block ×4, first 2 shown]
	s_waitcnt vmcnt(0)
	buffer_store_dword v90, off, s[28:31], 0 offset:1504 ; 4-byte Folded Spill
	buffer_store_dword v91, off, s[28:31], 0 offset:1508 ; 4-byte Folded Spill
	;; [unrolled: 1-line block ×4, first 2 shown]
	v_mul_f64 v[84:85], v[84:85], v[99:100]
	v_fma_f64 v[121:122], v[86:87], v[97:98], v[84:85]
	s_waitcnt lgkmcnt(15)
	v_mul_f64 v[84:85], v[82:83], v[92:93]
	v_fma_f64 v[113:114], v[80:81], v[90:91], -v[84:85]
	v_mul_f64 v[80:81], v[80:81], v[92:93]
	v_fma_f64 v[133:134], v[82:83], v[90:91], v[80:81]
	v_add_co_u32 v80, vcc_lo, 0x2550, v140
	v_add_co_ci_u32_e32 v81, vcc_lo, 0, v141, vcc_lo
	v_add_co_u32 v82, vcc_lo, 0x2000, v140
	v_add_co_ci_u32_e32 v83, vcc_lo, 0, v141, vcc_lo
	s_clause 0x1
	global_load_dwordx4 v[86:89], v[82:83], off offset:1360
	global_load_dwordx4 v[82:85], v[80:81], off offset:16
	s_waitcnt vmcnt(1) lgkmcnt(13)
	v_mul_f64 v[80:81], v[78:79], v[88:89]
	v_fma_f64 v[92:93], v[76:77], v[86:87], -v[80:81]
	buffer_store_dword v86, off, s[28:31], 0 offset:1528 ; 4-byte Folded Spill
	buffer_store_dword v87, off, s[28:31], 0 offset:1532 ; 4-byte Folded Spill
	;; [unrolled: 1-line block ×4, first 2 shown]
	s_waitcnt vmcnt(0)
	buffer_store_dword v82, off, s[28:31], 0 offset:1544 ; 4-byte Folded Spill
	buffer_store_dword v83, off, s[28:31], 0 offset:1548 ; 4-byte Folded Spill
	;; [unrolled: 1-line block ×4, first 2 shown]
	v_mul_f64 v[76:77], v[76:77], v[88:89]
	v_fma_f64 v[109:110], v[78:79], v[86:87], v[76:77]
	s_waitcnt lgkmcnt(12)
	v_mul_f64 v[76:77], v[74:75], v[84:85]
	v_fma_f64 v[101:102], v[72:73], v[82:83], -v[76:77]
	v_mul_f64 v[72:73], v[72:73], v[84:85]
	v_mov_b32_e32 v76, 0x6d3b
	v_fma_f64 v[115:116], v[74:75], v[82:83], v[72:73]
	v_lshrrev_b16 v72, 2, v169
	v_mul_u32_u24_sdwa v72, v72, v76 dst_sel:DWORD dst_unused:UNUSED_PAD src0_sel:WORD_0 src1_sel:DWORD
	v_lshrrev_b32_e32 v142, 21, v72
	v_mul_lo_u16 v72, 0x12c, v142
	v_sub_nc_u16 v143, v169, v72
	v_lshlrev_b16 v72, 5, v143
	v_and_b32_e32 v72, 0xffff, v72
	v_add_co_u32 v74, s26, s10, v72
	v_add_co_ci_u32_e64 v75, null, s11, 0, s26
	v_add_co_u32 v72, vcc_lo, 0x1290, v74
	v_add_co_ci_u32_e32 v73, vcc_lo, 0, v75, vcc_lo
	v_add_co_u32 v74, vcc_lo, 0x1000, v74
	v_add_co_ci_u32_e32 v75, vcc_lo, 0, v75, vcc_lo
	s_clause 0x1
	global_load_dwordx4 v[86:89], v[74:75], off offset:656
	global_load_dwordx4 v[77:80], v[72:73], off offset:16
	s_waitcnt vmcnt(1) lgkmcnt(10)
	v_mul_f64 v[72:73], v[70:71], v[88:89]
	v_fma_f64 v[84:85], v[68:69], v[86:87], -v[72:73]
	buffer_store_dword v86, off, s[28:31], 0 offset:1592 ; 4-byte Folded Spill
	buffer_store_dword v87, off, s[28:31], 0 offset:1596 ; 4-byte Folded Spill
	;; [unrolled: 1-line block ×4, first 2 shown]
	s_waitcnt vmcnt(0)
	buffer_store_dword v77, off, s[28:31], 0 offset:1608 ; 4-byte Folded Spill
	buffer_store_dword v78, off, s[28:31], 0 offset:1612 ; 4-byte Folded Spill
	;; [unrolled: 1-line block ×4, first 2 shown]
	v_mul_f64 v[68:69], v[68:69], v[88:89]
	v_fma_f64 v[103:104], v[70:71], v[86:87], v[68:69]
	s_waitcnt lgkmcnt(9)
	v_mul_f64 v[68:69], v[66:67], v[79:80]
	v_add_f64 v[70:71], v[136:137], v[150:151]
	v_fma_f64 v[94:95], v[64:65], v[77:78], -v[68:69]
	v_mul_f64 v[64:65], v[64:65], v[79:80]
	v_fma_f64 v[111:112], v[66:67], v[77:78], v[64:65]
	v_lshrrev_b16 v64, 2, v171
	v_mul_u32_u24_sdwa v64, v64, v76 dst_sel:DWORD dst_unused:UNUSED_PAD src0_sel:WORD_0 src1_sel:DWORD
	v_lshrrev_b32_e32 v64, 21, v64
	v_mul_lo_u16 v64, 0x12c, v64
	v_sub_nc_u16 v174, v171, v64
	v_lshlrev_b16 v64, 5, v174
	v_and_b32_e32 v64, 0xffff, v64
	v_add_co_u32 v66, s26, s10, v64
	v_add_co_ci_u32_e64 v67, null, s11, 0, s26
	v_add_co_u32 v64, vcc_lo, 0x1290, v66
	v_add_co_ci_u32_e32 v65, vcc_lo, 0, v67, vcc_lo
	v_add_co_u32 v66, vcc_lo, 0x1000, v66
	v_add_co_ci_u32_e32 v67, vcc_lo, 0, v67, vcc_lo
	s_clause 0x1
	global_load_dwordx4 v[236:239], v[66:67], off offset:656
	global_load_dwordx4 v[248:251], v[64:65], off offset:16
	v_add_f64 v[66:67], v[117:118], v[125:126]
	s_waitcnt vmcnt(1) lgkmcnt(7)
	v_mul_f64 v[64:65], v[62:63], v[238:239]
	v_fma_f64 v[78:79], v[60:61], v[236:237], -v[64:65]
	v_mul_f64 v[60:61], v[60:61], v[238:239]
	v_add_f64 v[64:65], v[119:120], -v[123:124]
	v_fma_f64 v[97:98], v[62:63], v[236:237], v[60:61]
	s_waitcnt vmcnt(0) lgkmcnt(6)
	v_mul_f64 v[60:61], v[58:59], v[250:251]
	v_add_f64 v[62:63], v[138:139], v[148:149]
	v_fma_f64 v[86:87], v[56:57], v[248:249], -v[60:61]
	v_mul_f64 v[56:57], v[56:57], v[250:251]
	v_fma_f64 v[105:106], v[58:59], v[248:249], v[56:57]
	v_lshrrev_b16 v56, 2, v170
	v_mul_u32_u24_sdwa v56, v56, v76 dst_sel:DWORD dst_unused:UNUSED_PAD src0_sel:WORD_0 src1_sel:DWORD
	v_lshrrev_b32_e32 v56, 21, v56
	v_mul_lo_u16 v56, 0x12c, v56
	v_sub_nc_u16 v176, v170, v56
	v_lshlrev_b16 v56, 5, v176
	v_and_b32_e32 v56, 0xffff, v56
	v_add_co_u32 v58, s26, s10, v56
	v_add_co_ci_u32_e64 v59, null, s11, 0, s26
	v_add_co_u32 v56, vcc_lo, 0x1290, v58
	v_add_co_ci_u32_e32 v57, vcc_lo, 0, v59, vcc_lo
	v_add_co_u32 v58, vcc_lo, 0x1000, v58
	v_add_co_ci_u32_e32 v59, vcc_lo, 0, v59, vcc_lo
	s_clause 0x1
	global_load_dwordx4 v[212:215], v[58:59], off offset:656
	global_load_dwordx4 v[220:223], v[56:57], off offset:16
	v_add_f64 v[58:59], v[119:120], v[123:124]
	s_waitcnt vmcnt(1) lgkmcnt(4)
	v_mul_f64 v[56:57], v[54:55], v[214:215]
	v_fma_f64 v[74:75], v[52:53], v[212:213], -v[56:57]
	v_mul_f64 v[52:53], v[52:53], v[214:215]
	v_add_f64 v[56:57], v[129:130], -v[146:147]
	v_fma_f64 v[88:89], v[54:55], v[212:213], v[52:53]
	s_waitcnt vmcnt(0) lgkmcnt(3)
	v_mul_f64 v[52:53], v[50:51], v[222:223]
	v_add_f64 v[54:55], v[152:153], v[158:159]
	v_fma_f64 v[80:81], v[48:49], v[220:221], -v[52:53]
	v_mul_f64 v[48:49], v[48:49], v[222:223]
	v_fma_f64 v[99:100], v[50:51], v[220:221], v[48:49]
	v_lshrrev_b16 v48, 2, v182
	v_mul_u32_u24_sdwa v48, v48, v76 dst_sel:DWORD dst_unused:UNUSED_PAD src0_sel:WORD_0 src1_sel:DWORD
	v_lshrrev_b32_e32 v48, 21, v48
	v_mul_lo_u16 v48, 0x12c, v48
	v_sub_nc_u16 v177, v182, v48
	v_lshlrev_b16 v48, 5, v177
	v_and_b32_e32 v48, 0xffff, v48
	v_add_co_u32 v50, s26, s10, v48
	v_add_co_ci_u32_e64 v51, null, s11, 0, s26
	v_add_co_u32 v48, vcc_lo, 0x1290, v50
	v_add_co_ci_u32_e32 v49, vcc_lo, 0, v51, vcc_lo
	v_add_co_u32 v50, vcc_lo, 0x1000, v50
	v_add_co_ci_u32_e32 v51, vcc_lo, 0, v51, vcc_lo
	s_clause 0x1
	global_load_dwordx4 v[192:195], v[50:51], off offset:656
	global_load_dwordx4 v[196:199], v[48:49], off offset:16
	v_add_f64 v[50:51], v[129:130], v[146:147]
	v_cmp_lt_u16_e32 vcc_lo, 29, v165
	s_waitcnt vmcnt(0) lgkmcnt(0)
	s_waitcnt_vscnt null, 0x0
	s_barrier
	buffer_gl0_inv
	v_mul_f64 v[48:49], v[46:47], v[194:195]
	v_fma_f64 v[72:73], v[44:45], v[192:193], -v[48:49]
	v_mul_f64 v[44:45], v[44:45], v[194:195]
	v_add_f64 v[48:49], v[144:145], -v[154:155]
	v_fma_f64 v[82:83], v[46:47], v[192:193], v[44:45]
	v_mul_f64 v[44:45], v[42:43], v[198:199]
	v_add_f64 v[46:47], v[156:157], v[131:132]
	v_fma_f64 v[76:77], v[40:41], v[196:197], -v[44:45]
	v_mul_f64 v[40:41], v[40:41], v[198:199]
	v_fma_f64 v[90:91], v[42:43], v[196:197], v[40:41]
	v_add_f64 v[42:43], v[144:145], v[154:155]
	v_add_f64 v[40:41], v[36:37], v[144:145]
	v_fma_f64 v[36:37], v[42:43], -0.5, v[36:37]
	v_add_f64 v[42:43], v[156:157], -v[131:132]
	v_add_f64 v[40:41], v[40:41], v[154:155]
	v_fma_f64 v[44:45], v[42:43], s[4:5], v[36:37]
	v_fma_f64 v[36:37], v[42:43], s[2:3], v[36:37]
	v_add_f64 v[42:43], v[38:39], v[156:157]
	v_fma_f64 v[38:39], v[46:47], -0.5, v[38:39]
	v_add_f64 v[42:43], v[42:43], v[131:132]
	v_fma_f64 v[46:47], v[48:49], s[2:3], v[38:39]
	v_fma_f64 v[38:39], v[48:49], s[4:5], v[38:39]
	v_add_f64 v[48:49], v[32:33], v[129:130]
	v_fma_f64 v[32:33], v[50:51], -0.5, v[32:33]
	v_add_f64 v[50:51], v[152:153], -v[158:159]
	v_add_f64 v[48:49], v[48:49], v[146:147]
	v_fma_f64 v[52:53], v[50:51], s[4:5], v[32:33]
	v_fma_f64 v[32:33], v[50:51], s[2:3], v[32:33]
	v_add_f64 v[50:51], v[34:35], v[152:153]
	v_fma_f64 v[34:35], v[54:55], -0.5, v[34:35]
	v_add_f64 v[50:51], v[50:51], v[158:159]
	v_fma_f64 v[54:55], v[56:57], s[2:3], v[34:35]
	v_fma_f64 v[34:35], v[56:57], s[4:5], v[34:35]
	v_add_f64 v[56:57], v[28:29], v[119:120]
	v_fma_f64 v[28:29], v[58:59], -0.5, v[28:29]
	v_add_f64 v[58:59], v[138:139], -v[148:149]
	v_add_f64 v[119:120], v[107:108], v[113:114]
	v_add_f64 v[56:57], v[56:57], v[123:124]
	v_add_f64 v[123:124], v[121:122], -v[133:134]
	v_fma_f64 v[60:61], v[58:59], s[4:5], v[28:29]
	v_fma_f64 v[28:29], v[58:59], s[2:3], v[28:29]
	v_add_f64 v[58:59], v[30:31], v[138:139]
	v_fma_f64 v[30:31], v[62:63], -0.5, v[30:31]
	v_fma_f64 v[119:120], v[119:120], -0.5, v[20:21]
	v_add_f64 v[58:59], v[58:59], v[148:149]
	v_fma_f64 v[62:63], v[64:65], s[2:3], v[30:31]
	v_fma_f64 v[30:31], v[64:65], s[4:5], v[30:31]
	v_add_f64 v[64:65], v[24:25], v[117:118]
	v_fma_f64 v[24:25], v[66:67], -0.5, v[24:25]
	v_add_f64 v[66:67], v[136:137], -v[150:151]
	v_add_f64 v[117:118], v[117:118], -v[125:126]
	ds_write_b128 v128, v[40:43]
	ds_write_b128 v128, v[44:47] offset:4800
	ds_write_b128 v128, v[36:39] offset:9600
	;; [unrolled: 1-line block ×8, first 2 shown]
	v_cndmask_b32_e64 v28, 0, 0x384, vcc_lo
	v_add_lshl_u32 v129, v96, v28, 4
	v_add_f64 v[64:65], v[64:65], v[125:126]
	v_fma_f64 v[68:69], v[66:67], s[4:5], v[24:25]
	v_fma_f64 v[24:25], v[66:67], s[2:3], v[24:25]
	v_add_f64 v[66:67], v[26:27], v[136:137]
	v_fma_f64 v[26:27], v[70:71], -0.5, v[26:27]
	v_add_f64 v[66:67], v[66:67], v[150:151]
	v_fma_f64 v[70:71], v[117:118], s[2:3], v[26:27]
	v_fma_f64 v[26:27], v[117:118], s[4:5], v[26:27]
	v_add_f64 v[117:118], v[20:21], v[107:108]
	v_fma_f64 v[20:21], v[123:124], s[4:5], v[119:120]
	v_fma_f64 v[123:124], v[123:124], s[2:3], v[119:120]
	v_add_f64 v[119:120], v[22:23], v[121:122]
	v_add_f64 v[121:122], v[121:122], v[133:134]
	v_add_f64 v[107:108], v[107:108], -v[113:114]
	v_add_f64 v[117:118], v[117:118], v[113:114]
	v_add_f64 v[113:114], v[109:110], -v[115:116]
	v_add_f64 v[119:120], v[119:120], v[133:134]
	v_fma_f64 v[121:122], v[121:122], -0.5, v[22:23]
	v_fma_f64 v[22:23], v[107:108], s[2:3], v[121:122]
	v_fma_f64 v[125:126], v[107:108], s[4:5], v[121:122]
	v_add_f64 v[107:108], v[16:17], v[92:93]
	v_add_f64 v[130:131], v[107:108], v[101:102]
	;; [unrolled: 1-line block ×3, first 2 shown]
	v_add_f64 v[92:93], v[92:93], -v[101:102]
	v_add_f64 v[101:102], v[103:104], -v[111:112]
	v_fma_f64 v[107:108], v[107:108], -0.5, v[16:17]
	v_fma_f64 v[16:17], v[113:114], s[4:5], v[107:108]
	v_fma_f64 v[107:108], v[113:114], s[2:3], v[107:108]
	v_add_f64 v[113:114], v[18:19], v[109:110]
	v_add_f64 v[109:110], v[109:110], v[115:116]
	;; [unrolled: 1-line block ×3, first 2 shown]
	v_fma_f64 v[109:110], v[109:110], -0.5, v[18:19]
	v_fma_f64 v[18:19], v[92:93], s[2:3], v[109:110]
	v_fma_f64 v[109:110], v[92:93], s[4:5], v[109:110]
	v_add_f64 v[92:93], v[12:13], v[84:85]
	ds_write_b128 v129, v[64:67]
	ds_write_b128 v129, v[68:71] offset:4800
	ds_write_b128 v129, v[24:27] offset:9600
	;; [unrolled: 1-line block ×8, first 2 shown]
	v_mad_u16 v16, 0x384, v142, v143
	v_lshlrev_b32_sdwa v186, v175, v16 dst_sel:DWORD dst_unused:UNUSED_PAD src0_sel:DWORD src1_sel:WORD_0
	v_add_f64 v[113:114], v[92:93], v[94:95]
	v_add_f64 v[92:93], v[84:85], v[94:95]
	v_add_f64 v[84:85], v[84:85], -v[94:95]
	v_fma_f64 v[92:93], v[92:93], -0.5, v[12:13]
	v_fma_f64 v[12:13], v[101:102], s[4:5], v[92:93]
	v_fma_f64 v[92:93], v[101:102], s[2:3], v[92:93]
	v_add_f64 v[101:102], v[14:15], v[103:104]
	v_add_f64 v[115:116], v[101:102], v[111:112]
	v_add_f64 v[101:102], v[103:104], v[111:112]
	v_add_f64 v[103:104], v[97:98], -v[105:106]
	v_fma_f64 v[101:102], v[101:102], -0.5, v[14:15]
	v_fma_f64 v[14:15], v[84:85], s[2:3], v[101:102]
	v_fma_f64 v[94:95], v[84:85], s[4:5], v[101:102]
	v_add_f64 v[84:85], v[8:9], v[78:79]
	ds_write_b128 v186, v[113:116]
	ds_write_b128 v186, v[12:15] offset:4800
	ds_write_b128 v186, v[92:95] offset:9600
	v_lshlrev_b32_sdwa v12, v175, v174 dst_sel:DWORD dst_unused:UNUSED_PAD src0_sel:DWORD src1_sel:WORD_0
	v_add_f64 v[101:102], v[84:85], v[86:87]
	v_add_f64 v[84:85], v[78:79], v[86:87]
	v_add_f64 v[78:79], v[78:79], -v[86:87]
	buffer_store_dword v12, off, s[28:31], 0 offset:1524 ; 4-byte Folded Spill
	v_fma_f64 v[84:85], v[84:85], -0.5, v[8:9]
	v_fma_f64 v[8:9], v[103:104], s[4:5], v[84:85]
	v_fma_f64 v[84:85], v[103:104], s[2:3], v[84:85]
	v_add_f64 v[103:104], v[10:11], v[97:98]
	v_add_f64 v[97:98], v[97:98], v[105:106]
	;; [unrolled: 1-line block ×3, first 2 shown]
	v_fma_f64 v[97:98], v[97:98], -0.5, v[10:11]
	v_fma_f64 v[10:11], v[78:79], s[2:3], v[97:98]
	v_fma_f64 v[86:87], v[78:79], s[4:5], v[97:98]
	v_add_f64 v[78:79], v[4:5], v[74:75]
	v_add_f64 v[97:98], v[88:89], -v[99:100]
	ds_write_b128 v12, v[101:104] offset:28800
	ds_write_b128 v12, v[8:11] offset:33600
	;; [unrolled: 1-line block ×3, first 2 shown]
	v_lshlrev_b32_sdwa v8, v175, v176 dst_sel:DWORD dst_unused:UNUSED_PAD src0_sel:DWORD src1_sel:WORD_0
	v_add_f64 v[136:137], v[78:79], v[80:81]
	v_add_f64 v[78:79], v[74:75], v[80:81]
	v_add_f64 v[74:75], v[74:75], -v[80:81]
	buffer_store_dword v8, off, s[28:31], 0 offset:1520 ; 4-byte Folded Spill
	v_fma_f64 v[78:79], v[78:79], -0.5, v[4:5]
	v_fma_f64 v[4:5], v[97:98], s[4:5], v[78:79]
	v_fma_f64 v[78:79], v[97:98], s[2:3], v[78:79]
	v_add_f64 v[97:98], v[6:7], v[88:89]
	v_add_f64 v[88:89], v[88:89], v[99:100]
	;; [unrolled: 1-line block ×3, first 2 shown]
	v_fma_f64 v[88:89], v[88:89], -0.5, v[6:7]
	v_fma_f64 v[6:7], v[74:75], s[2:3], v[88:89]
	v_fma_f64 v[80:81], v[74:75], s[4:5], v[88:89]
	v_add_f64 v[74:75], v[0:1], v[72:73]
	v_add_f64 v[88:89], v[82:83], -v[90:91]
	ds_write_b128 v8, v[136:139] offset:28800
	ds_write_b128 v8, v[4:7] offset:33600
	;; [unrolled: 1-line block ×3, first 2 shown]
	v_lshlrev_b32_sdwa v4, v175, v177 dst_sel:DWORD dst_unused:UNUSED_PAD src0_sel:DWORD src1_sel:WORD_0
	v_add_f64 v[97:98], v[74:75], v[76:77]
	v_add_f64 v[74:75], v[72:73], v[76:77]
	v_add_f64 v[72:73], v[72:73], -v[76:77]
	buffer_store_dword v4, off, s[28:31], 0 offset:1500 ; 4-byte Folded Spill
	v_fma_f64 v[74:75], v[74:75], -0.5, v[0:1]
	v_fma_f64 v[0:1], v[88:89], s[4:5], v[74:75]
	v_fma_f64 v[74:75], v[88:89], s[2:3], v[74:75]
	v_add_f64 v[88:89], v[2:3], v[82:83]
	v_add_f64 v[82:83], v[82:83], v[90:91]
	v_add_f64 v[99:100], v[88:89], v[90:91]
	v_fma_f64 v[82:83], v[82:83], -0.5, v[2:3]
	v_fma_f64 v[2:3], v[72:73], s[2:3], v[82:83]
	v_fma_f64 v[76:77], v[72:73], s[4:5], v[82:83]
	ds_write_b128 v4, v[97:100] offset:28800
	ds_write_b128 v4, v[0:3] offset:33600
	;; [unrolled: 1-line block ×3, first 2 shown]
	v_add_co_u32 v4, vcc_lo, 0x3810, v140
	v_add_co_ci_u32_e32 v5, vcc_lo, 0, v141, vcc_lo
	v_add_co_u32 v6, vcc_lo, 0x3800, v140
	v_add_co_ci_u32_e32 v7, vcc_lo, 0, v141, vcc_lo
	s_waitcnt lgkmcnt(0)
	s_waitcnt_vscnt null, 0x0
	s_barrier
	buffer_gl0_inv
	ds_read_b128 v[36:39], v128
	ds_read_b128 v[0:3], v128 offset:14400
	ds_read_b128 v[112:115], v128 offset:28800
	;; [unrolled: 1-line block ×29, first 2 shown]
	s_clause 0x1
	global_load_dwordx4 v[136:139], v[6:7], off offset:16
	global_load_dwordx4 v[130:133], v[4:5], off offset:16
	s_waitcnt vmcnt(1) lgkmcnt(28)
	v_mul_f64 v[4:5], v[2:3], v[138:139]
	v_fma_f64 v[4:5], v[0:1], v[136:137], -v[4:5]
	buffer_store_dword v136, off, s[28:31], 0 offset:1576 ; 4-byte Folded Spill
	buffer_store_dword v137, off, s[28:31], 0 offset:1580 ; 4-byte Folded Spill
	buffer_store_dword v138, off, s[28:31], 0 offset:1584 ; 4-byte Folded Spill
	buffer_store_dword v139, off, s[28:31], 0 offset:1588 ; 4-byte Folded Spill
	v_mul_f64 v[0:1], v[0:1], v[138:139]
	v_fma_f64 v[0:1], v[2:3], v[136:137], v[0:1]
	s_waitcnt vmcnt(0) lgkmcnt(27)
	v_mul_f64 v[2:3], v[114:115], v[132:133]
	v_fma_f64 v[2:3], v[112:113], v[130:131], -v[2:3]
	buffer_store_dword v130, off, s[28:31], 0 offset:1560 ; 4-byte Folded Spill
	buffer_store_dword v131, off, s[28:31], 0 offset:1564 ; 4-byte Folded Spill
	;; [unrolled: 1-line block ×4, first 2 shown]
	v_mul_f64 v[6:7], v[112:113], v[132:133]
	v_fma_f64 v[142:143], v[114:115], v[130:131], v[6:7]
	v_add_co_u32 v6, vcc_lo, 0x3810, v127
	v_add_co_ci_u32_e32 v7, vcc_lo, 0, v135, vcc_lo
	v_add_co_u32 v112, vcc_lo, 0x3800, v127
	v_add_co_ci_u32_e32 v113, vcc_lo, 0, v135, vcc_lo
	global_load_dwordx4 v[124:127], v[112:113], off offset:16
	s_waitcnt vmcnt(0)
	buffer_store_dword v124, off, s[28:31], 0 offset:1640 ; 4-byte Folded Spill
	buffer_store_dword v125, off, s[28:31], 0 offset:1644 ; 4-byte Folded Spill
	;; [unrolled: 1-line block ×4, first 2 shown]
	global_load_dwordx4 v[112:115], v[6:7], off offset:16
	s_waitcnt vmcnt(0)
	buffer_store_dword v112, off, s[28:31], 0 offset:1624 ; 4-byte Folded Spill
	buffer_store_dword v113, off, s[28:31], 0 offset:1628 ; 4-byte Folded Spill
	buffer_store_dword v114, off, s[28:31], 0 offset:1632 ; 4-byte Folded Spill
	buffer_store_dword v115, off, s[28:31], 0 offset:1636 ; 4-byte Folded Spill
	s_waitcnt lgkmcnt(25)
	v_mul_f64 v[6:7], v[118:119], v[126:127]
	v_fma_f64 v[130:131], v[116:117], v[124:125], -v[6:7]
	v_mul_f64 v[6:7], v[116:117], v[126:127]
	v_fma_f64 v[136:137], v[118:119], v[124:125], v[6:7]
	s_waitcnt lgkmcnt(24)
	v_mul_f64 v[6:7], v[122:123], v[114:115]
	v_fma_f64 v[138:139], v[120:121], v[112:113], -v[6:7]
	v_mul_f64 v[6:7], v[120:121], v[114:115]
	v_fma_f64 v[190:191], v[122:123], v[112:113], v[6:7]
	v_add_co_u32 v6, vcc_lo, 0x3810, v172
	v_add_co_ci_u32_e32 v7, vcc_lo, 0, v173, vcc_lo
	v_add_co_u32 v112, vcc_lo, 0x3800, v172
	v_add_co_ci_u32_e32 v113, vcc_lo, 0, v173, vcc_lo
	global_load_dwordx4 v[116:119], v[112:113], off offset:16
	s_waitcnt vmcnt(0)
	buffer_store_dword v116, off, s[28:31], 0 offset:1672 ; 4-byte Folded Spill
	buffer_store_dword v117, off, s[28:31], 0 offset:1676 ; 4-byte Folded Spill
	;; [unrolled: 1-line block ×4, first 2 shown]
	global_load_dwordx4 v[112:115], v[6:7], off offset:16
	s_waitcnt vmcnt(0)
	buffer_store_dword v112, off, s[28:31], 0 offset:1656 ; 4-byte Folded Spill
	buffer_store_dword v113, off, s[28:31], 0 offset:1660 ; 4-byte Folded Spill
	;; [unrolled: 1-line block ×4, first 2 shown]
	s_waitcnt lgkmcnt(22)
	v_mul_f64 v[6:7], v[102:103], v[118:119]
	v_fma_f64 v[124:125], v[100:101], v[116:117], -v[6:7]
	v_mul_f64 v[6:7], v[100:101], v[118:119]
	v_fma_f64 v[100:101], v[102:103], v[116:117], v[6:7]
	s_waitcnt lgkmcnt(21)
	v_mul_f64 v[6:7], v[98:99], v[114:115]
	v_fma_f64 v[102:103], v[96:97], v[112:113], -v[6:7]
	v_mul_f64 v[6:7], v[96:97], v[114:115]
	v_lshlrev_b32_e32 v96, 5, v166
	v_fma_f64 v[6:7], v[98:99], v[112:113], v[6:7]
	v_add_co_u32 v98, s26, s10, v96
	v_add_co_ci_u32_e64 v99, null, s11, 0, s26
	v_add_co_u32 v96, vcc_lo, 0x3810, v98
	v_add_co_ci_u32_e32 v97, vcc_lo, 0, v99, vcc_lo
	v_add_co_u32 v98, vcc_lo, 0x3800, v98
	v_add_co_ci_u32_e32 v99, vcc_lo, 0, v99, vcc_lo
	s_clause 0x1
	global_load_dwordx4 v[232:235], v[98:99], off offset:16
	global_load_dwordx4 v[240:243], v[96:97], off offset:16
	s_waitcnt vmcnt(1) lgkmcnt(19)
	v_mul_f64 v[96:97], v[94:95], v[234:235]
	v_fma_f64 v[114:115], v[92:93], v[232:233], -v[96:97]
	v_mul_f64 v[92:93], v[92:93], v[234:235]
	v_fma_f64 v[126:127], v[94:95], v[232:233], v[92:93]
	s_waitcnt vmcnt(0) lgkmcnt(18)
	v_mul_f64 v[92:93], v[90:91], v[242:243]
	v_fma_f64 v[120:121], v[88:89], v[240:241], -v[92:93]
	v_mul_f64 v[88:89], v[88:89], v[242:243]
	v_fma_f64 v[88:89], v[90:91], v[240:241], v[88:89]
	v_lshlrev_b32_e32 v90, 5, v168
	v_add_co_u32 v92, s26, s10, v90
	v_add_co_ci_u32_e64 v93, null, s11, 0, s26
	v_add_co_u32 v90, vcc_lo, 0x3810, v92
	v_add_co_ci_u32_e32 v91, vcc_lo, 0, v93, vcc_lo
	v_add_co_u32 v92, vcc_lo, 0x3800, v92
	v_add_co_ci_u32_e32 v93, vcc_lo, 0, v93, vcc_lo
	s_clause 0x1
	global_load_dwordx4 v[224:227], v[92:93], off offset:16
	global_load_dwordx4 v[228:231], v[90:91], off offset:16
	s_waitcnt vmcnt(1) lgkmcnt(16)
	v_mul_f64 v[90:91], v[86:87], v[226:227]
	v_fma_f64 v[90:91], v[84:85], v[224:225], -v[90:91]
	v_mul_f64 v[84:85], v[84:85], v[226:227]
	v_fma_f64 v[118:119], v[86:87], v[224:225], v[84:85]
	s_waitcnt vmcnt(0) lgkmcnt(15)
	v_mul_f64 v[84:85], v[82:83], v[230:231]
	v_fma_f64 v[112:113], v[80:81], v[228:229], -v[84:85]
	v_mul_f64 v[80:81], v[80:81], v[230:231]
	v_fma_f64 v[122:123], v[82:83], v[228:229], v[80:81]
	v_lshlrev_b32_e32 v80, 5, v167
	;; [unrolled: 20-line block ×6, first 2 shown]
	v_add_co_u32 v50, s10, s10, v48
	v_add_co_ci_u32_e64 v51, null, s11, 0, s10
	v_add_co_u32 v48, vcc_lo, 0x3810, v50
	v_add_co_ci_u32_e32 v49, vcc_lo, 0, v51, vcc_lo
	v_add_co_u32 v50, vcc_lo, 0x3800, v50
	v_add_co_ci_u32_e32 v51, vcc_lo, 0, v51, vcc_lo
	s_clause 0x1
	global_load_dwordx4 v[152:155], v[50:51], off offset:16
	global_load_dwordx4 v[156:159], v[48:49], off offset:16
	s_waitcnt vmcnt(1) lgkmcnt(1)
	v_mul_f64 v[48:49], v[46:47], v[154:155]
	v_fma_f64 v[188:189], v[44:45], v[152:153], -v[48:49]
	v_mul_f64 v[44:45], v[44:45], v[154:155]
	v_fma_f64 v[46:47], v[46:47], v[152:153], v[44:45]
	s_waitcnt vmcnt(0) lgkmcnt(0)
	v_mul_f64 v[44:45], v[42:43], v[158:159]
	v_fma_f64 v[44:45], v[40:41], v[156:157], -v[44:45]
	v_mul_f64 v[40:41], v[40:41], v[158:159]
	v_fma_f64 v[40:41], v[42:43], v[156:157], v[40:41]
	v_add_f64 v[42:43], v[36:37], v[4:5]
	v_add_f64 v[148:149], v[42:43], v[2:3]
	v_add_f64 v[42:43], v[4:5], v[2:3]
	v_add_f64 v[2:3], v[4:5], -v[2:3]
	v_fma_f64 v[36:37], v[42:43], -0.5, v[36:37]
	v_add_f64 v[42:43], v[0:1], -v[142:143]
	v_fma_f64 v[144:145], v[42:43], s[4:5], v[36:37]
	v_fma_f64 v[36:37], v[42:43], s[2:3], v[36:37]
	v_add_f64 v[42:43], v[38:39], v[0:1]
	v_add_f64 v[0:1], v[0:1], v[142:143]
	;; [unrolled: 1-line block ×3, first 2 shown]
	v_fma_f64 v[0:1], v[0:1], -0.5, v[38:39]
	v_add_f64 v[42:43], v[90:91], -v[112:113]
	v_fma_f64 v[146:147], v[2:3], s[2:3], v[0:1]
	v_fma_f64 v[38:39], v[2:3], s[4:5], v[0:1]
	v_add_f64 v[0:1], v[32:33], v[130:131]
	v_add_f64 v[2:3], v[136:137], -v[190:191]
	v_add_f64 v[48:49], v[0:1], v[138:139]
	v_add_f64 v[0:1], v[130:131], v[138:139]
	v_fma_f64 v[0:1], v[0:1], -0.5, v[32:33]
	v_fma_f64 v[52:53], v[2:3], s[4:5], v[0:1]
	v_fma_f64 v[32:33], v[2:3], s[2:3], v[0:1]
	v_add_f64 v[0:1], v[34:35], v[136:137]
	v_add_f64 v[2:3], v[130:131], -v[138:139]
	v_add_f64 v[50:51], v[0:1], v[190:191]
	v_add_f64 v[0:1], v[136:137], v[190:191]
	v_fma_f64 v[0:1], v[0:1], -0.5, v[34:35]
	;; [unrolled: 7-line block ×3, first 2 shown]
	v_fma_f64 v[60:61], v[2:3], s[4:5], v[0:1]
	v_fma_f64 v[28:29], v[2:3], s[2:3], v[0:1]
	v_add_f64 v[0:1], v[30:31], v[100:101]
	v_add_f64 v[2:3], v[124:125], -v[102:103]
	v_add_f64 v[58:59], v[0:1], v[6:7]
	v_add_f64 v[0:1], v[100:101], v[6:7]
	v_add_f64 v[6:7], v[118:119], -v[122:123]
	v_fma_f64 v[0:1], v[0:1], -0.5, v[30:31]
	v_fma_f64 v[62:63], v[2:3], s[2:3], v[0:1]
	v_fma_f64 v[30:31], v[2:3], s[4:5], v[0:1]
	v_add_f64 v[0:1], v[24:25], v[114:115]
	v_add_f64 v[2:3], v[126:127], -v[88:89]
	v_add_f64 v[64:65], v[0:1], v[120:121]
	v_add_f64 v[0:1], v[114:115], v[120:121]
	v_fma_f64 v[0:1], v[0:1], -0.5, v[24:25]
	v_fma_f64 v[68:69], v[2:3], s[4:5], v[0:1]
	v_fma_f64 v[24:25], v[2:3], s[2:3], v[0:1]
	v_add_f64 v[0:1], v[26:27], v[126:127]
	v_add_f64 v[2:3], v[114:115], -v[120:121]
	v_add_f64 v[66:67], v[0:1], v[88:89]
	v_add_f64 v[0:1], v[126:127], v[88:89]
	v_fma_f64 v[0:1], v[0:1], -0.5, v[26:27]
	v_fma_f64 v[70:71], v[2:3], s[2:3], v[0:1]
	v_fma_f64 v[26:27], v[2:3], s[4:5], v[0:1]
	v_add_f64 v[2:3], v[90:91], v[112:113]
	v_add_f64 v[0:1], v[20:21], v[90:91]
	v_add_f64 v[90:91], v[78:79], -v[116:117]
	v_fma_f64 v[2:3], v[2:3], -0.5, v[20:21]
	v_add_f64 v[0:1], v[0:1], v[112:113]
	v_fma_f64 v[4:5], v[6:7], s[4:5], v[2:3]
	v_fma_f64 v[20:21], v[6:7], s[2:3], v[2:3]
	v_add_f64 v[6:7], v[118:119], v[122:123]
	v_add_f64 v[2:3], v[22:23], v[118:119]
	v_fma_f64 v[22:23], v[6:7], -0.5, v[22:23]
	v_add_f64 v[2:3], v[2:3], v[122:123]
	v_fma_f64 v[6:7], v[42:43], s[2:3], v[22:23]
	v_fma_f64 v[22:23], v[42:43], s[4:5], v[22:23]
	v_add_f64 v[42:43], v[16:17], v[98:99]
	v_add_f64 v[88:89], v[42:43], v[76:77]
	;; [unrolled: 1-line block ×3, first 2 shown]
	v_add_f64 v[76:77], v[98:99], -v[76:77]
	v_fma_f64 v[42:43], v[42:43], -0.5, v[16:17]
	v_fma_f64 v[16:17], v[90:91], s[4:5], v[42:43]
	v_fma_f64 v[100:101], v[90:91], s[2:3], v[42:43]
	v_add_f64 v[42:43], v[18:19], v[78:79]
	v_add_f64 v[90:91], v[42:43], v[116:117]
	;; [unrolled: 1-line block ×3, first 2 shown]
	v_add_f64 v[78:79], v[74:75], -v[72:73]
	v_fma_f64 v[42:43], v[42:43], -0.5, v[18:19]
	v_fma_f64 v[18:19], v[76:77], s[2:3], v[42:43]
	v_fma_f64 v[102:103], v[76:77], s[4:5], v[42:43]
	v_add_f64 v[42:43], v[12:13], v[92:93]
	v_add_f64 v[76:77], v[42:43], v[96:97]
	v_add_f64 v[42:43], v[92:93], v[96:97]
	v_fma_f64 v[42:43], v[42:43], -0.5, v[12:13]
	v_fma_f64 v[12:13], v[78:79], s[4:5], v[42:43]
	v_fma_f64 v[112:113], v[78:79], s[2:3], v[42:43]
	v_add_f64 v[42:43], v[14:15], v[74:75]
	v_add_f64 v[78:79], v[42:43], v[72:73]
	v_add_f64 v[42:43], v[74:75], v[72:73]
	v_add_f64 v[72:73], v[92:93], -v[96:97]
	v_add_f64 v[74:75], v[94:95], -v[80:81]
	v_fma_f64 v[42:43], v[42:43], -0.5, v[14:15]
	v_fma_f64 v[14:15], v[72:73], s[2:3], v[42:43]
	v_fma_f64 v[114:115], v[72:73], s[4:5], v[42:43]
	v_add_f64 v[42:43], v[8:9], v[132:133]
	v_add_f64 v[72:73], v[42:43], v[84:85]
	v_add_f64 v[42:43], v[132:133], v[84:85]
	v_fma_f64 v[42:43], v[42:43], -0.5, v[8:9]
	v_fma_f64 v[8:9], v[74:75], s[4:5], v[42:43]
	v_fma_f64 v[92:93], v[74:75], s[2:3], v[42:43]
	v_add_f64 v[42:43], v[10:11], v[94:95]
	v_add_f64 v[74:75], v[42:43], v[80:81]
	v_add_f64 v[42:43], v[94:95], v[80:81]
	v_add_f64 v[80:81], v[132:133], -v[84:85]
	;; [unrolled: 14-line block ×3, first 2 shown]
	v_fma_f64 v[42:43], v[42:43], -0.5, v[110:111]
	v_add_f64 v[110:111], v[46:47], -v[40:41]
	v_fma_f64 v[82:83], v[86:87], s[2:3], v[42:43]
	v_fma_f64 v[86:87], v[86:87], s[4:5], v[42:43]
	v_add_f64 v[42:43], v[104:105], v[188:189]
	v_add_f64 v[108:109], v[42:43], v[44:45]
	;; [unrolled: 1-line block ×3, first 2 shown]
	v_fma_f64 v[104:105], v[42:43], -0.5, v[104:105]
	v_fma_f64 v[42:43], v[110:111], s[4:5], v[104:105]
	v_fma_f64 v[104:105], v[110:111], s[2:3], v[104:105]
	v_add_f64 v[110:111], v[106:107], v[46:47]
	v_add_f64 v[110:111], v[110:111], v[40:41]
	;; [unrolled: 1-line block ×3, first 2 shown]
	v_add_f64 v[46:47], v[188:189], -v[44:45]
	v_fma_f64 v[40:41], v[40:41], -0.5, v[106:107]
	v_fma_f64 v[44:45], v[46:47], s[2:3], v[40:41]
	v_fma_f64 v[106:107], v[46:47], s[4:5], v[40:41]
	ds_write_b128 v128, v[148:151]
	ds_write_b128 v128, v[144:147] offset:14400
	ds_write_b128 v128, v[36:39] offset:28800
	;; [unrolled: 1-line block ×29, first 2 shown]
	v_add_co_u32 v12, vcc_lo, 0xa8c0, v162
	v_add_co_ci_u32_e32 v13, vcc_lo, 0, v187, vcc_lo
	v_add_co_u32 v4, vcc_lo, 0xa800, v162
	v_add_co_ci_u32_e32 v5, vcc_lo, 0, v187, vcc_lo
	s_waitcnt lgkmcnt(0)
	s_waitcnt_vscnt null, 0x0
	s_barrier
	buffer_gl0_inv
	global_load_dwordx4 v[4:7], v[4:5], off offset:192
	ds_read_b128 v[0:3], v128
	v_add_co_u32 v14, vcc_lo, 0xe000, v162
	v_add_co_ci_u32_e32 v15, vcc_lo, 0, v187, vcc_lo
	v_add_co_u32 v16, vcc_lo, 0x11800, v162
	v_add_co_ci_u32_e32 v17, vcc_lo, 0, v187, vcc_lo
	s_waitcnt vmcnt(0) lgkmcnt(0)
	v_mul_f64 v[8:9], v[2:3], v[6:7]
	v_fma_f64 v[8:9], v[0:1], v[4:5], -v[8:9]
	v_mul_f64 v[0:1], v[0:1], v[6:7]
	v_fma_f64 v[10:11], v[2:3], v[4:5], v[0:1]
	global_load_dwordx4 v[4:7], v[14:15], off offset:256
	ds_read_b128 v[0:3], v128 offset:14400
	ds_write_b128 v128, v[8:11]
	s_waitcnt vmcnt(0) lgkmcnt(1)
	v_mul_f64 v[8:9], v[2:3], v[6:7]
	v_fma_f64 v[8:9], v[0:1], v[4:5], -v[8:9]
	v_mul_f64 v[0:1], v[0:1], v[6:7]
	v_fma_f64 v[10:11], v[2:3], v[4:5], v[0:1]
	global_load_dwordx4 v[4:7], v[16:17], off offset:320
	ds_read_b128 v[0:3], v128 offset:28800
	ds_write_b128 v128, v[8:11] offset:14400
	s_waitcnt vmcnt(0) lgkmcnt(1)
	v_mul_f64 v[8:9], v[2:3], v[6:7]
	v_fma_f64 v[8:9], v[0:1], v[4:5], -v[8:9]
	v_mul_f64 v[0:1], v[0:1], v[6:7]
	v_fma_f64 v[10:11], v[2:3], v[4:5], v[0:1]
	global_load_dwordx4 v[4:7], v[12:13], off offset:1440
	ds_read_b128 v[0:3], v128 offset:1440
	ds_write_b128 v128, v[8:11] offset:28800
	;; [unrolled: 8-line block ×4, first 2 shown]
	s_waitcnt vmcnt(0) lgkmcnt(1)
	v_mul_f64 v[8:9], v[2:3], v[6:7]
	v_fma_f64 v[8:9], v[0:1], v[4:5], -v[8:9]
	v_mul_f64 v[0:1], v[0:1], v[6:7]
	v_fma_f64 v[10:11], v[2:3], v[4:5], v[0:1]
	v_add_co_u32 v4, vcc_lo, 0xb000, v162
	v_add_co_ci_u32_e32 v5, vcc_lo, 0, v187, vcc_lo
	ds_read_b128 v[0:3], v128 offset:2880
	global_load_dwordx4 v[4:7], v[4:5], off offset:1024
	ds_write_b128 v128, v[8:11] offset:30240
	s_waitcnt vmcnt(0) lgkmcnt(1)
	v_mul_f64 v[8:9], v[2:3], v[6:7]
	v_fma_f64 v[8:9], v[0:1], v[4:5], -v[8:9]
	v_mul_f64 v[0:1], v[0:1], v[6:7]
	v_fma_f64 v[10:11], v[2:3], v[4:5], v[0:1]
	v_add_co_u32 v4, vcc_lo, 0xe800, v162
	v_add_co_ci_u32_e32 v5, vcc_lo, 0, v187, vcc_lo
	ds_read_b128 v[0:3], v128 offset:17280
	global_load_dwordx4 v[4:7], v[4:5], off offset:1088
	ds_write_b128 v128, v[8:11] offset:2880
	s_waitcnt vmcnt(0) lgkmcnt(1)
	v_mul_f64 v[8:9], v[2:3], v[6:7]
	v_fma_f64 v[8:9], v[0:1], v[4:5], -v[8:9]
	v_mul_f64 v[0:1], v[0:1], v[6:7]
	v_fma_f64 v[10:11], v[2:3], v[4:5], v[0:1]
	v_add_co_u32 v4, vcc_lo, 0x12000, v162
	v_add_co_ci_u32_e32 v5, vcc_lo, 0, v187, vcc_lo
	ds_read_b128 v[0:3], v128 offset:31680
	v_add_co_u32 v12, vcc_lo, 0xb800, v162
	global_load_dwordx4 v[4:7], v[4:5], off offset:1152
	v_add_co_ci_u32_e32 v13, vcc_lo, 0, v187, vcc_lo
	v_add_co_u32 v14, vcc_lo, 0xf000, v162
	v_add_co_ci_u32_e32 v15, vcc_lo, 0, v187, vcc_lo
	v_add_co_u32 v16, vcc_lo, 0x12800, v162
	v_add_co_ci_u32_e32 v17, vcc_lo, 0, v187, vcc_lo
	ds_write_b128 v128, v[8:11] offset:17280
	s_waitcnt vmcnt(0) lgkmcnt(1)
	v_mul_f64 v[8:9], v[2:3], v[6:7]
	v_fma_f64 v[8:9], v[0:1], v[4:5], -v[8:9]
	v_mul_f64 v[0:1], v[0:1], v[6:7]
	v_fma_f64 v[10:11], v[2:3], v[4:5], v[0:1]
	global_load_dwordx4 v[4:7], v[12:13], off offset:416
	ds_read_b128 v[0:3], v128 offset:4320
	ds_write_b128 v128, v[8:11] offset:31680
	s_waitcnt vmcnt(0) lgkmcnt(1)
	v_mul_f64 v[8:9], v[2:3], v[6:7]
	v_fma_f64 v[8:9], v[0:1], v[4:5], -v[8:9]
	v_mul_f64 v[0:1], v[0:1], v[6:7]
	v_fma_f64 v[10:11], v[2:3], v[4:5], v[0:1]
	global_load_dwordx4 v[4:7], v[14:15], off offset:480
	ds_read_b128 v[0:3], v128 offset:18720
	;; [unrolled: 8-line block ×6, first 2 shown]
	ds_write_b128 v128, v[8:11] offset:20160
	s_waitcnt vmcnt(0) lgkmcnt(1)
	v_mul_f64 v[8:9], v[2:3], v[6:7]
	v_fma_f64 v[8:9], v[0:1], v[4:5], -v[8:9]
	v_mul_f64 v[0:1], v[0:1], v[6:7]
	v_fma_f64 v[10:11], v[2:3], v[4:5], v[0:1]
	v_add_co_u32 v4, vcc_lo, 0xc000, v162
	v_add_co_ci_u32_e32 v5, vcc_lo, 0, v187, vcc_lo
	ds_read_b128 v[0:3], v128 offset:7200
	global_load_dwordx4 v[4:7], v[4:5], off offset:1248
	ds_write_b128 v128, v[8:11] offset:34560
	s_waitcnt vmcnt(0) lgkmcnt(1)
	v_mul_f64 v[8:9], v[2:3], v[6:7]
	v_fma_f64 v[8:9], v[0:1], v[4:5], -v[8:9]
	v_mul_f64 v[0:1], v[0:1], v[6:7]
	v_fma_f64 v[10:11], v[2:3], v[4:5], v[0:1]
	v_add_co_u32 v4, vcc_lo, 0xf800, v162
	v_add_co_ci_u32_e32 v5, vcc_lo, 0, v187, vcc_lo
	ds_read_b128 v[0:3], v128 offset:21600
	global_load_dwordx4 v[4:7], v[4:5], off offset:1312
	;; [unrolled: 10-line block ×5, first 2 shown]
	ds_write_b128 v128, v[8:11] offset:8640
	s_waitcnt vmcnt(0) lgkmcnt(1)
	v_mul_f64 v[8:9], v[2:3], v[6:7]
	v_fma_f64 v[8:9], v[0:1], v[4:5], -v[8:9]
	v_mul_f64 v[0:1], v[0:1], v[6:7]
	v_fma_f64 v[10:11], v[2:3], v[4:5], v[0:1]
	v_add_co_u32 v4, vcc_lo, 0x13800, v162
	v_add_co_ci_u32_e32 v5, vcc_lo, 0, v187, vcc_lo
	ds_read_b128 v[0:3], v128 offset:37440
	v_add_co_u32 v12, vcc_lo, 0xd000, v162
	global_load_dwordx4 v[4:7], v[4:5], off offset:768
	v_add_co_ci_u32_e32 v13, vcc_lo, 0, v187, vcc_lo
	v_add_co_u32 v14, vcc_lo, 0x10800, v162
	v_add_co_ci_u32_e32 v15, vcc_lo, 0, v187, vcc_lo
	v_add_co_u32 v16, vcc_lo, 0x14000, v162
	v_add_co_ci_u32_e32 v17, vcc_lo, 0, v187, vcc_lo
	ds_write_b128 v128, v[8:11] offset:23040
	s_waitcnt vmcnt(0) lgkmcnt(1)
	v_mul_f64 v[8:9], v[2:3], v[6:7]
	v_fma_f64 v[8:9], v[0:1], v[4:5], -v[8:9]
	v_mul_f64 v[0:1], v[0:1], v[6:7]
	v_fma_f64 v[10:11], v[2:3], v[4:5], v[0:1]
	global_load_dwordx4 v[4:7], v[12:13], off offset:32
	ds_read_b128 v[0:3], v128 offset:10080
	ds_write_b128 v128, v[8:11] offset:37440
	s_waitcnt vmcnt(0) lgkmcnt(1)
	v_mul_f64 v[8:9], v[2:3], v[6:7]
	v_fma_f64 v[8:9], v[0:1], v[4:5], -v[8:9]
	v_mul_f64 v[0:1], v[0:1], v[6:7]
	v_fma_f64 v[10:11], v[2:3], v[4:5], v[0:1]
	global_load_dwordx4 v[4:7], v[14:15], off offset:96
	ds_read_b128 v[0:3], v128 offset:24480
	;; [unrolled: 8-line block ×6, first 2 shown]
	ds_write_b128 v128, v[8:11] offset:25920
	s_waitcnt vmcnt(0) lgkmcnt(1)
	v_mul_f64 v[8:9], v[2:3], v[6:7]
	v_fma_f64 v[8:9], v[0:1], v[4:5], -v[8:9]
	v_mul_f64 v[0:1], v[0:1], v[6:7]
	v_fma_f64 v[10:11], v[2:3], v[4:5], v[0:1]
	v_add_co_u32 v4, vcc_lo, 0xd800, v162
	v_add_co_ci_u32_e32 v5, vcc_lo, 0, v187, vcc_lo
	ds_read_b128 v[0:3], v128 offset:12960
	global_load_dwordx4 v[4:7], v[4:5], off offset:864
	ds_write_b128 v128, v[8:11] offset:40320
	s_waitcnt vmcnt(0) lgkmcnt(1)
	v_mul_f64 v[8:9], v[2:3], v[6:7]
	v_fma_f64 v[8:9], v[0:1], v[4:5], -v[8:9]
	v_mul_f64 v[0:1], v[0:1], v[6:7]
	v_fma_f64 v[10:11], v[2:3], v[4:5], v[0:1]
	v_add_co_u32 v4, vcc_lo, 0x11000, v162
	v_add_co_ci_u32_e32 v5, vcc_lo, 0, v187, vcc_lo
	ds_read_b128 v[0:3], v128 offset:27360
	global_load_dwordx4 v[4:7], v[4:5], off offset:928
	;; [unrolled: 10-line block ×3, first 2 shown]
	ds_write_b128 v128, v[8:11] offset:27360
	s_waitcnt vmcnt(0) lgkmcnt(1)
	v_mul_f64 v[8:9], v[2:3], v[6:7]
	v_fma_f64 v[8:9], v[0:1], v[4:5], -v[8:9]
	v_mul_f64 v[0:1], v[0:1], v[6:7]
	v_fma_f64 v[10:11], v[2:3], v[4:5], v[0:1]
	ds_write_b128 v128, v[8:11] offset:41760
	s_waitcnt lgkmcnt(0)
	s_barrier
	buffer_gl0_inv
	ds_read_b128 v[76:79], v128
	ds_read_b128 v[80:83], v128 offset:14400
	ds_read_b128 v[100:103], v128 offset:28800
	;; [unrolled: 1-line block ×29, first 2 shown]
	s_waitcnt lgkmcnt(28)
	v_add_f64 v[112:113], v[76:77], v[80:81]
	s_waitcnt lgkmcnt(0)
	s_barrier
	buffer_gl0_inv
	v_add_f64 v[116:117], v[112:113], v[100:101]
	v_add_f64 v[112:113], v[80:81], v[100:101]
	v_fma_f64 v[76:77], v[112:113], -0.5, v[76:77]
	v_add_f64 v[112:113], v[82:83], -v[102:103]
	v_fma_f64 v[120:121], v[112:113], s[2:3], v[76:77]
	v_fma_f64 v[124:125], v[112:113], s[4:5], v[76:77]
	v_add_f64 v[76:77], v[78:79], v[82:83]
	v_add_f64 v[118:119], v[76:77], v[102:103]
	;; [unrolled: 1-line block ×3, first 2 shown]
	v_add_f64 v[82:83], v[132:133], -v[136:137]
	v_add_f64 v[102:103], v[130:131], -v[134:135]
	v_fma_f64 v[76:77], v[76:77], -0.5, v[78:79]
	v_add_f64 v[78:79], v[80:81], -v[100:101]
	v_fma_f64 v[122:123], v[78:79], s[4:5], v[76:77]
	v_fma_f64 v[126:127], v[78:79], s[2:3], v[76:77]
	v_add_f64 v[76:77], v[104:105], v[130:131]
	v_add_f64 v[80:81], v[76:77], v[134:135]
	;; [unrolled: 1-line block ×3, first 2 shown]
	v_fma_f64 v[78:79], v[76:77], -0.5, v[104:105]
	v_fma_f64 v[76:77], v[82:83], s[2:3], v[78:79]
	v_fma_f64 v[112:113], v[82:83], s[4:5], v[78:79]
	v_add_f64 v[78:79], v[106:107], v[132:133]
	v_add_f64 v[82:83], v[78:79], v[136:137]
	;; [unrolled: 1-line block ×3, first 2 shown]
	v_fma_f64 v[100:101], v[78:79], -0.5, v[106:107]
	v_fma_f64 v[78:79], v[102:103], s[4:5], v[100:101]
	v_fma_f64 v[114:115], v[102:103], s[2:3], v[100:101]
	v_add_f64 v[100:101], v[96:97], v[68:69]
	v_add_f64 v[102:103], v[70:71], -v[110:111]
	v_add_f64 v[104:105], v[100:101], v[108:109]
	v_add_f64 v[100:101], v[68:69], v[108:109]
	v_add_f64 v[68:69], v[68:69], -v[108:109]
	v_add_f64 v[108:109], v[6:7], -v[2:3]
	v_fma_f64 v[96:97], v[100:101], -0.5, v[96:97]
	v_fma_f64 v[100:101], v[102:103], s[2:3], v[96:97]
	v_fma_f64 v[96:97], v[102:103], s[4:5], v[96:97]
	v_add_f64 v[102:103], v[98:99], v[70:71]
	v_add_f64 v[70:71], v[70:71], v[110:111]
	;; [unrolled: 1-line block ×3, first 2 shown]
	v_fma_f64 v[70:71], v[70:71], -0.5, v[98:99]
	v_fma_f64 v[102:103], v[68:69], s[4:5], v[70:71]
	v_fma_f64 v[98:99], v[68:69], s[2:3], v[70:71]
	v_add_f64 v[70:71], v[4:5], v[0:1]
	v_add_f64 v[68:69], v[72:73], v[4:5]
	v_fma_f64 v[70:71], v[70:71], -0.5, v[72:73]
	v_add_f64 v[68:69], v[68:69], v[0:1]
	v_add_f64 v[0:1], v[4:5], -v[0:1]
	v_fma_f64 v[72:73], v[108:109], s[2:3], v[70:71]
	v_fma_f64 v[108:109], v[108:109], s[4:5], v[70:71]
	v_add_f64 v[70:71], v[74:75], v[6:7]
	v_add_f64 v[70:71], v[70:71], v[2:3]
	;; [unrolled: 1-line block ×3, first 2 shown]
	v_add_f64 v[6:7], v[86:87], -v[90:91]
	v_fma_f64 v[2:3], v[2:3], -0.5, v[74:75]
	v_fma_f64 v[74:75], v[0:1], s[4:5], v[2:3]
	v_fma_f64 v[110:111], v[0:1], s[2:3], v[2:3]
	v_add_f64 v[2:3], v[84:85], v[88:89]
	v_add_f64 v[0:1], v[92:93], v[84:85]
	v_add_f64 v[84:85], v[84:85], -v[88:89]
	v_fma_f64 v[2:3], v[2:3], -0.5, v[92:93]
	v_add_f64 v[0:1], v[0:1], v[88:89]
	v_fma_f64 v[4:5], v[6:7], s[2:3], v[2:3]
	v_fma_f64 v[92:93], v[6:7], s[4:5], v[2:3]
	v_add_f64 v[6:7], v[86:87], v[90:91]
	v_add_f64 v[2:3], v[94:95], v[86:87]
	v_fma_f64 v[86:87], v[6:7], -0.5, v[94:95]
	v_add_f64 v[2:3], v[2:3], v[90:91]
	v_fma_f64 v[6:7], v[84:85], s[4:5], v[86:87]
	v_fma_f64 v[94:95], v[84:85], s[2:3], v[86:87]
	v_add_f64 v[84:85], v[56:57], v[48:49]
	v_add_f64 v[86:87], v[50:51], -v[54:55]
	v_add_f64 v[88:89], v[84:85], v[52:53]
	v_add_f64 v[84:85], v[48:49], v[52:53]
	v_add_f64 v[48:49], v[48:49], -v[52:53]
	v_add_f64 v[52:53], v[38:39], -v[42:43]
	v_fma_f64 v[56:57], v[84:85], -0.5, v[56:57]
	v_fma_f64 v[84:85], v[86:87], s[2:3], v[56:57]
	v_fma_f64 v[56:57], v[86:87], s[4:5], v[56:57]
	v_add_f64 v[86:87], v[58:59], v[50:51]
	v_add_f64 v[50:51], v[50:51], v[54:55]
	;; [unrolled: 1-line block ×3, first 2 shown]
	v_fma_f64 v[50:51], v[50:51], -0.5, v[58:59]
	v_fma_f64 v[86:87], v[48:49], s[4:5], v[50:51]
	v_fma_f64 v[58:59], v[48:49], s[2:3], v[50:51]
	v_add_f64 v[50:51], v[36:37], v[40:41]
	v_add_f64 v[48:49], v[44:45], v[36:37]
	v_add_f64 v[36:37], v[36:37], -v[40:41]
	v_fma_f64 v[50:51], v[50:51], -0.5, v[44:45]
	v_add_f64 v[48:49], v[48:49], v[40:41]
	v_add_f64 v[40:41], v[26:27], -v[30:31]
	v_fma_f64 v[44:45], v[52:53], s[2:3], v[50:51]
	v_fma_f64 v[52:53], v[52:53], s[4:5], v[50:51]
	v_add_f64 v[50:51], v[46:47], v[38:39]
	v_add_f64 v[38:39], v[38:39], v[42:43]
	;; [unrolled: 1-line block ×3, first 2 shown]
	v_fma_f64 v[38:39], v[38:39], -0.5, v[46:47]
	v_fma_f64 v[46:47], v[36:37], s[4:5], v[38:39]
	v_fma_f64 v[54:55], v[36:37], s[2:3], v[38:39]
	v_add_f64 v[38:39], v[24:25], v[28:29]
	v_add_f64 v[36:37], v[32:33], v[24:25]
	v_add_f64 v[24:25], v[24:25], -v[28:29]
	v_fma_f64 v[38:39], v[38:39], -0.5, v[32:33]
	v_add_f64 v[36:37], v[36:37], v[28:29]
	v_fma_f64 v[32:33], v[40:41], s[2:3], v[38:39]
	v_fma_f64 v[40:41], v[40:41], s[4:5], v[38:39]
	v_add_f64 v[38:39], v[34:35], v[26:27]
	v_add_f64 v[26:27], v[26:27], v[30:31]
	;; [unrolled: 1-line block ×3, first 2 shown]
	v_fma_f64 v[26:27], v[26:27], -0.5, v[34:35]
	v_add_f64 v[30:31], v[14:15], -v[18:19]
	v_fma_f64 v[34:35], v[24:25], s[4:5], v[26:27]
	v_fma_f64 v[42:43], v[24:25], s[2:3], v[26:27]
	v_add_f64 v[26:27], v[12:13], v[16:17]
	v_add_f64 v[24:25], v[60:61], v[12:13]
	v_add_f64 v[12:13], v[12:13], -v[16:17]
	v_fma_f64 v[26:27], v[26:27], -0.5, v[60:61]
	v_add_f64 v[24:25], v[24:25], v[16:17]
	v_fma_f64 v[28:29], v[30:31], s[2:3], v[26:27]
	v_fma_f64 v[60:61], v[30:31], s[4:5], v[26:27]
	v_add_f64 v[26:27], v[62:63], v[14:15]
	v_add_f64 v[14:15], v[14:15], v[18:19]
	;; [unrolled: 1-line block ×3, first 2 shown]
	v_fma_f64 v[14:15], v[14:15], -0.5, v[62:63]
	v_add_f64 v[18:19], v[22:23], -v[10:11]
	v_fma_f64 v[30:31], v[12:13], s[4:5], v[14:15]
	v_fma_f64 v[62:63], v[12:13], s[2:3], v[14:15]
	v_add_f64 v[14:15], v[20:21], v[8:9]
	v_add_f64 v[12:13], v[64:65], v[20:21]
	v_fma_f64 v[14:15], v[14:15], -0.5, v[64:65]
	v_add_f64 v[12:13], v[12:13], v[8:9]
	v_add_f64 v[8:9], v[20:21], -v[8:9]
	v_fma_f64 v[16:17], v[18:19], s[2:3], v[14:15]
	v_fma_f64 v[64:65], v[18:19], s[4:5], v[14:15]
	v_add_f64 v[14:15], v[66:67], v[22:23]
	v_add_f64 v[14:15], v[14:15], v[10:11]
	;; [unrolled: 1-line block ×3, first 2 shown]
	v_fma_f64 v[10:11], v[10:11], -0.5, v[66:67]
	v_fma_f64 v[18:19], v[8:9], s[4:5], v[10:11]
	v_fma_f64 v[66:67], v[8:9], s[2:3], v[10:11]
	buffer_load_dword v8, off, s[28:31], 0 offset:520 ; 4-byte Folded Reload
	s_waitcnt vmcnt(0)
	ds_write_b128 v8, v[116:119]
	ds_write_b128 v8, v[120:123] offset:16
	ds_write_b128 v8, v[124:127] offset:32
	buffer_load_dword v8, off, s[28:31], 0 offset:516 ; 4-byte Folded Reload
	s_waitcnt vmcnt(0)
	ds_write_b128 v8, v[80:83]
	ds_write_b128 v8, v[76:79] offset:16
	ds_write_b128 v8, v[112:115] offset:32
	;; [unrolled: 5-line block ×9, first 2 shown]
	ds_write_b128 v183, v[12:15]
	ds_write_b128 v183, v[16:19] offset:16
	ds_write_b128 v183, v[64:67] offset:32
	s_waitcnt lgkmcnt(0)
	s_barrier
	buffer_gl0_inv
	ds_read_b128 v[4:7], v128
	ds_read_b128 v[8:11], v128 offset:4320
	ds_read_b128 v[12:15], v128 offset:8640
	;; [unrolled: 1-line block ×29, first 2 shown]
	s_clause 0x3
	buffer_load_dword v0, off, s[28:31], 0 offset:572
	buffer_load_dword v1, off, s[28:31], 0 offset:576
	buffer_load_dword v2, off, s[28:31], 0 offset:580
	buffer_load_dword v3, off, s[28:31], 0 offset:584
	s_waitcnt vmcnt(0) lgkmcnt(28)
	v_mul_f64 v[40:41], v[2:3], v[10:11]
	v_fma_f64 v[78:79], v[0:1], v[8:9], v[40:41]
	v_mul_f64 v[8:9], v[2:3], v[8:9]
	v_fma_f64 v[42:43], v[0:1], v[10:11], -v[8:9]
	s_clause 0x3
	buffer_load_dword v0, off, s[28:31], 0 offset:556
	buffer_load_dword v1, off, s[28:31], 0 offset:560
	buffer_load_dword v2, off, s[28:31], 0 offset:564
	buffer_load_dword v3, off, s[28:31], 0 offset:568
	s_waitcnt vmcnt(0) lgkmcnt(27)
	v_mul_f64 v[8:9], v[2:3], v[14:15]
	v_fma_f64 v[146:147], v[0:1], v[12:13], v[8:9]
	v_mul_f64 v[8:9], v[2:3], v[12:13]
	v_fma_f64 v[148:149], v[0:1], v[14:15], -v[8:9]
	;; [unrolled: 10-line block ×6, first 2 shown]
	s_clause 0x7
	buffer_load_dword v0, off, s[28:31], 0 offset:652
	buffer_load_dword v1, off, s[28:31], 0 offset:656
	;; [unrolled: 1-line block ×8, first 2 shown]
	s_waitcnt vmcnt(4) lgkmcnt(22)
	v_mul_f64 v[8:9], v[2:3], v[34:35]
	v_mul_f64 v[2:3], v[2:3], v[32:33]
	v_fma_f64 v[10:11], v[0:1], v[32:33], v[8:9]
	s_waitcnt vmcnt(0) lgkmcnt(21)
	v_mul_f64 v[8:9], v[14:15], v[38:39]
	v_fma_f64 v[2:3], v[0:1], v[34:35], -v[2:3]
	v_fma_f64 v[92:93], v[12:13], v[36:37], v[8:9]
	v_mul_f64 v[8:9], v[14:15], v[36:37]
	v_fma_f64 v[0:1], v[12:13], v[38:39], -v[8:9]
	s_clause 0x3
	buffer_load_dword v12, off, s[28:31], 0 offset:620
	buffer_load_dword v13, off, s[28:31], 0 offset:624
	;; [unrolled: 1-line block ×4, first 2 shown]
	s_waitcnt vmcnt(0) lgkmcnt(20)
	v_mul_f64 v[8:9], v[14:15], v[46:47]
	v_fma_f64 v[104:105], v[12:13], v[44:45], v[8:9]
	v_mul_f64 v[8:9], v[14:15], v[44:45]
	v_fma_f64 v[46:47], v[12:13], v[46:47], -v[8:9]
	s_clause 0x7
	buffer_load_dword v12, off, s[28:31], 0 offset:668
	buffer_load_dword v13, off, s[28:31], 0 offset:672
	;; [unrolled: 1-line block ×8, first 2 shown]
	s_waitcnt vmcnt(4) lgkmcnt(18)
	v_mul_f64 v[8:9], v[14:15], v[52:53]
	v_fma_f64 v[16:17], v[12:13], v[50:51], v[8:9]
	v_mul_f64 v[8:9], v[14:15], v[50:51]
	v_fma_f64 v[8:9], v[12:13], v[52:53], -v[8:9]
	s_waitcnt vmcnt(0) lgkmcnt(17)
	v_mul_f64 v[12:13], v[20:21], v[56:57]
	v_fma_f64 v[30:31], v[18:19], v[54:55], v[12:13]
	v_mul_f64 v[12:13], v[20:21], v[54:55]
	v_add_f64 v[54:55], v[146:147], -v[182:183]
	v_fma_f64 v[26:27], v[18:19], v[56:57], -v[12:13]
	s_clause 0x3
	buffer_load_dword v18, off, s[28:31], 0 offset:716
	buffer_load_dword v19, off, s[28:31], 0 offset:720
	;; [unrolled: 1-line block ×4, first 2 shown]
	v_add_f64 v[56:57], v[148:149], -v[0:1]
	s_waitcnt vmcnt(0) lgkmcnt(16)
	v_mul_f64 v[12:13], v[20:21], v[60:61]
	v_mul_f64 v[14:15], v[20:21], v[58:59]
	v_fma_f64 v[12:13], v[18:19], v[58:59], v[12:13]
	v_fma_f64 v[60:61], v[18:19], v[60:61], -v[14:15]
	s_clause 0x3
	buffer_load_dword v18, off, s[28:31], 0 offset:684
	buffer_load_dword v19, off, s[28:31], 0 offset:688
	;; [unrolled: 1-line block ×4, first 2 shown]
	v_add_f64 v[58:59], v[187:188], -v[40:41]
	s_waitcnt vmcnt(0) lgkmcnt(15)
	v_mul_f64 v[14:15], v[20:21], v[64:65]
	v_fma_f64 v[34:35], v[18:19], v[62:63], v[14:15]
	v_mul_f64 v[14:15], v[20:21], v[62:63]
	s_clause 0x3
	buffer_load_dword v20, off, s[28:31], 0 offset:732
	buffer_load_dword v21, off, s[28:31], 0 offset:736
	;; [unrolled: 1-line block ×4, first 2 shown]
	v_fma_f64 v[32:33], v[18:19], v[64:65], -v[14:15]
	v_add_f64 v[64:65], v[92:93], -v[118:119]
	v_add_f64 v[54:55], v[54:55], v[64:65]
	v_add_f64 v[64:65], v[182:183], -v[146:147]
	s_waitcnt vmcnt(0) lgkmcnt(14)
	v_mul_f64 v[14:15], v[22:23], v[68:69]
	v_fma_f64 v[18:19], v[20:21], v[66:67], v[14:15]
	v_mul_f64 v[14:15], v[22:23], v[66:67]
	s_clause 0x7
	buffer_load_dword v22, off, s[28:31], 0 offset:764
	buffer_load_dword v23, off, s[28:31], 0 offset:768
	;; [unrolled: 1-line block ×8, first 2 shown]
	v_add_f64 v[66:67], v[118:119], -v[92:93]
	v_fma_f64 v[14:15], v[20:21], v[68:69], -v[14:15]
	v_add_f64 v[68:69], v[0:1], -v[40:41]
	v_add_f64 v[64:65], v[64:65], v[66:67]
	v_add_f64 v[66:67], v[182:183], -v[118:119]
	s_waitcnt vmcnt(4) lgkmcnt(13)
	v_mul_f64 v[20:21], v[24:25], v[72:73]
	v_fma_f64 v[38:39], v[22:23], v[70:71], v[20:21]
	v_mul_f64 v[20:21], v[24:25], v[70:71]
	v_add_f64 v[70:71], v[150:151], -v[189:190]
	v_fma_f64 v[36:37], v[22:23], v[72:73], -v[20:21]
	s_waitcnt vmcnt(0) lgkmcnt(12)
	v_mul_f64 v[20:21], v[52:53], v[76:77]
	v_fma_f64 v[22:23], v[50:51], v[74:75], v[20:21]
	v_mul_f64 v[20:21], v[52:53], v[74:75]
	v_fma_f64 v[20:21], v[50:51], v[76:77], -v[20:21]
	s_clause 0x3
	buffer_load_dword v50, off, s[28:31], 0 offset:748
	buffer_load_dword v51, off, s[28:31], 0 offset:752
	buffer_load_dword v52, off, s[28:31], 0 offset:756
	buffer_load_dword v53, off, s[28:31], 0 offset:760
	s_waitcnt vmcnt(0) lgkmcnt(11)
	v_mul_f64 v[24:25], v[52:53], v[86:87]
	v_fma_f64 v[76:77], v[50:51], v[84:85], v[24:25]
	v_mul_f64 v[24:25], v[52:53], v[84:85]
	v_fma_f64 v[72:73], v[50:51], v[86:87], -v[24:25]
	s_clause 0x3
	buffer_load_dword v50, off, s[28:31], 0 offset:796
	buffer_load_dword v51, off, s[28:31], 0 offset:800
	buffer_load_dword v52, off, s[28:31], 0 offset:804
	buffer_load_dword v53, off, s[28:31], 0 offset:808
	;; [unrolled: 10-line block ×7, first 2 shown]
	s_waitcnt lgkmcnt(4)
	v_mul_f64 v[44:45], v[246:247], v[126:127]
	v_fma_f64 v[96:97], v[244:245], v[124:125], v[44:45]
	v_mul_f64 v[44:45], v[246:247], v[124:125]
	v_fma_f64 v[88:89], v[244:245], v[126:127], -v[44:45]
	s_waitcnt vmcnt(0) lgkmcnt(3)
	v_mul_f64 v[44:45], v[52:53], v[132:133]
	v_fma_f64 v[116:117], v[50:51], v[130:131], v[44:45]
	v_mul_f64 v[44:45], v[52:53], v[130:131]
	v_add_f64 v[130:131], v[46:47], -v[2:3]
	v_fma_f64 v[110:111], v[50:51], v[132:133], -v[44:45]
	s_clause 0x3
	buffer_load_dword v50, off, s[28:31], 0 offset:956
	buffer_load_dword v51, off, s[28:31], 0 offset:960
	;; [unrolled: 1-line block ×4, first 2 shown]
	s_waitcnt vmcnt(0) lgkmcnt(2)
	v_mul_f64 v[44:45], v[52:53], v[136:137]
	v_fma_f64 v[98:99], v[50:51], v[134:135], v[44:45]
	v_mul_f64 v[44:45], v[52:53], v[134:135]
	v_fma_f64 v[94:95], v[50:51], v[136:137], -v[44:45]
	s_clause 0x3
	buffer_load_dword v50, off, s[28:31], 0 offset:972
	buffer_load_dword v51, off, s[28:31], 0 offset:976
	;; [unrolled: 1-line block ×4, first 2 shown]
	s_waitcnt vmcnt(0) lgkmcnt(0)
	s_barrier
	buffer_gl0_inv
	v_mul_f64 v[44:45], v[52:53], v[140:141]
	v_fma_f64 v[126:127], v[50:51], v[138:139], v[44:45]
	v_mul_f64 v[44:45], v[52:53], v[138:139]
	v_fma_f64 v[114:115], v[50:51], v[140:141], -v[44:45]
	v_mul_f64 v[44:45], v[254:255], v[144:145]
	v_fma_f64 v[124:125], v[252:253], v[142:143], v[44:45]
	v_mul_f64 v[44:45], v[254:255], v[142:143]
	v_fma_f64 v[100:101], v[252:253], v[144:145], -v[44:45]
	v_add_f64 v[44:45], v[4:5], v[146:147]
	v_add_f64 v[44:45], v[44:45], v[182:183]
	;; [unrolled: 1-line block ×5, first 2 shown]
	v_add_f64 v[118:119], v[10:11], -v[104:105]
	v_fma_f64 v[50:51], v[44:45], -0.5, v[4:5]
	v_fma_f64 v[44:45], v[56:57], s[16:17], v[50:51]
	v_fma_f64 v[50:51], v[56:57], s[6:7], v[50:51]
	;; [unrolled: 1-line block ×6, first 2 shown]
	v_add_f64 v[50:51], v[146:147], v[92:93]
	v_fma_f64 v[4:5], v[50:51], -0.5, v[4:5]
	v_fma_f64 v[50:51], v[58:59], s[6:7], v[4:5]
	v_fma_f64 v[4:5], v[58:59], s[16:17], v[4:5]
	v_add_f64 v[58:59], v[148:149], -v[187:188]
	v_fma_f64 v[50:51], v[56:57], s[18:19], v[50:51]
	v_fma_f64 v[4:5], v[56:57], s[8:9], v[4:5]
	v_add_f64 v[68:69], v[58:59], v[68:69]
	v_fma_f64 v[142:143], v[64:65], s[14:15], v[50:51]
	v_fma_f64 v[56:57], v[64:65], s[14:15], v[4:5]
	v_add_f64 v[4:5], v[6:7], v[148:149]
	v_add_f64 v[64:65], v[146:147], -v[92:93]
	v_add_f64 v[92:93], v[104:105], -v[10:11]
	v_add_f64 v[4:5], v[4:5], v[187:188]
	v_add_f64 v[70:71], v[70:71], v[92:93]
	v_add_f64 v[92:93], v[189:190], -v[150:151]
	v_add_f64 v[4:5], v[4:5], v[40:41]
	v_add_f64 v[92:93], v[92:93], v[118:119]
	;; [unrolled: 1-line block ×4, first 2 shown]
	v_fma_f64 v[4:5], v[4:5], -0.5, v[6:7]
	v_fma_f64 v[50:51], v[64:65], s[6:7], v[4:5]
	v_fma_f64 v[4:5], v[64:65], s[16:17], v[4:5]
	;; [unrolled: 1-line block ×5, first 2 shown]
	v_add_f64 v[50:51], v[148:149], v[0:1]
	v_add_f64 v[0:1], v[40:41], -v[0:1]
	v_add_f64 v[40:41], v[189:190], v[10:11]
	v_fma_f64 v[4:5], v[68:69], s[14:15], v[4:5]
	v_add_f64 v[68:69], v[187:188], -v[148:149]
	v_fma_f64 v[6:7], v[50:51], -0.5, v[6:7]
	v_fma_f64 v[40:41], v[40:41], -0.5, v[78:79]
	v_add_f64 v[0:1], v[68:69], v[0:1]
	v_add_f64 v[68:69], v[102:103], -v[2:3]
	v_fma_f64 v[50:51], v[66:67], s[16:17], v[6:7]
	v_fma_f64 v[6:7], v[66:67], s[6:7], v[6:7]
	;; [unrolled: 1-line block ×4, first 2 shown]
	v_add_f64 v[64:65], v[48:49], -v[46:47]
	v_fma_f64 v[50:51], v[0:1], s[14:15], v[50:51]
	v_fma_f64 v[6:7], v[0:1], s[14:15], v[6:7]
	;; [unrolled: 1-line block ×4, first 2 shown]
	v_add_f64 v[0:1], v[78:79], v[150:151]
	v_fma_f64 v[66:67], v[68:69], s[18:19], v[66:67]
	v_fma_f64 v[40:41], v[68:69], s[8:9], v[40:41]
	v_add_f64 v[0:1], v[0:1], v[189:190]
	v_fma_f64 v[66:67], v[70:71], s[14:15], v[66:67]
	v_fma_f64 v[40:41], v[70:71], s[14:15], v[40:41]
	v_add_f64 v[70:71], v[150:151], v[104:105]
	v_add_f64 v[0:1], v[0:1], v[10:11]
	v_add_f64 v[10:11], v[189:190], -v[10:11]
	v_fma_f64 v[70:71], v[70:71], -0.5, v[78:79]
	v_add_f64 v[0:1], v[0:1], v[104:105]
	v_fma_f64 v[78:79], v[68:69], s[6:7], v[70:71]
	v_fma_f64 v[68:69], v[68:69], s[16:17], v[70:71]
	v_add_f64 v[138:139], v[52:53], v[0:1]
	v_fma_f64 v[78:79], v[64:65], s[18:19], v[78:79]
	v_fma_f64 v[64:65], v[64:65], s[8:9], v[68:69]
	v_add_f64 v[68:69], v[150:151], -v[104:105]
	v_add_f64 v[104:105], v[48:49], -v[102:103]
	v_fma_f64 v[78:79], v[92:93], s[14:15], v[78:79]
	v_fma_f64 v[92:93], v[92:93], s[14:15], v[64:65]
	v_add_f64 v[64:65], v[42:43], v[48:49]
	v_add_f64 v[104:105], v[104:105], v[130:131]
	;; [unrolled: 1-line block ×6, first 2 shown]
	v_add_f64 v[2:3], v[2:3], -v[46:47]
	v_add_f64 v[140:141], v[144:145], v[118:119]
	v_fma_f64 v[64:65], v[64:65], -0.5, v[42:43]
	v_fma_f64 v[70:71], v[68:69], s[6:7], v[64:65]
	v_fma_f64 v[64:65], v[68:69], s[16:17], v[64:65]
	;; [unrolled: 1-line block ×6, first 2 shown]
	v_add_f64 v[64:65], v[48:49], v[46:47]
	v_add_f64 v[48:49], v[102:103], -v[48:49]
	v_fma_f64 v[42:43], v[64:65], -0.5, v[42:43]
	v_add_f64 v[2:3], v[48:49], v[2:3]
	v_fma_f64 v[64:65], v[10:11], s[16:17], v[42:43]
	v_fma_f64 v[10:11], v[10:11], s[6:7], v[42:43]
	v_fma_f64 v[64:65], v[68:69], s[8:9], v[64:65]
	v_fma_f64 v[10:11], v[68:69], s[18:19], v[10:11]
	v_fma_f64 v[46:47], v[2:3], s[14:15], v[64:65]
	v_fma_f64 v[2:3], v[2:3], s[14:15], v[10:11]
	v_mul_f64 v[10:11], v[70:71], s[18:19]
	v_mul_f64 v[42:43], v[46:47], s[16:17]
	;; [unrolled: 1-line block ×5, first 2 shown]
	v_fma_f64 v[10:11], v[66:67], s[20:21], v[10:11]
	v_fma_f64 v[42:43], v[78:79], s[14:15], v[42:43]
	;; [unrolled: 1-line block ×3, first 2 shown]
	v_mul_f64 v[48:49], v[104:105], s[18:19]
	v_fma_f64 v[78:79], v[78:79], s[6:7], v[46:47]
	v_fma_f64 v[2:3], v[92:93], s[6:7], v[2:3]
	v_mul_f64 v[46:47], v[104:105], s[24:25]
	v_add_f64 v[64:65], v[44:45], v[10:11]
	v_add_f64 v[44:45], v[44:45], -v[10:11]
	v_add_f64 v[10:11], v[32:33], -v[36:37]
	;; [unrolled: 1-line block ×3, first 2 shown]
	v_add_f64 v[68:69], v[142:143], v[42:43]
	v_add_f64 v[134:135], v[56:57], v[102:103]
	v_fma_f64 v[146:147], v[40:41], s[24:25], v[48:49]
	v_mul_f64 v[48:49], v[70:71], s[20:21]
	v_add_f64 v[136:137], v[6:7], v[2:3]
	v_fma_f64 v[92:93], v[40:41], s[8:9], v[46:47]
	v_add_f64 v[40:41], v[52:53], -v[0:1]
	v_add_f64 v[52:53], v[56:57], -v[102:103]
	v_add_f64 v[70:71], v[50:51], v[78:79]
	v_add_f64 v[50:51], v[50:51], -v[78:79]
	v_add_f64 v[78:79], v[30:31], -v[34:35]
	v_add_f64 v[102:103], v[34:35], -v[30:31]
	v_add_f64 v[0:1], v[120:121], v[30:31]
	v_add_f64 v[130:131], v[54:55], v[146:147]
	v_fma_f64 v[148:149], v[66:67], s[8:9], v[48:49]
	v_add_f64 v[56:57], v[54:55], -v[146:147]
	v_add_f64 v[54:55], v[6:7], -v[2:3]
	v_add_f64 v[2:3], v[34:35], v[38:39]
	v_add_f64 v[132:133], v[4:5], v[92:93]
	v_add_f64 v[48:49], v[142:143], -v[42:43]
	v_add_f64 v[42:43], v[144:145], -v[118:119]
	;; [unrolled: 1-line block ×3, first 2 shown]
	v_add_f64 v[102:103], v[102:103], v[104:105]
	v_add_f64 v[0:1], v[0:1], v[34:35]
	;; [unrolled: 1-line block ×3, first 2 shown]
	v_add_f64 v[46:47], v[58:59], -v[148:149]
	v_add_f64 v[58:59], v[4:5], -v[92:93]
	v_fma_f64 v[2:3], v[2:3], -0.5, v[120:121]
	v_add_f64 v[4:5], v[26:27], -v[72:73]
	v_add_f64 v[92:93], v[76:77], -v[38:39]
	v_add_f64 v[0:1], v[0:1], v[38:39]
	v_fma_f64 v[6:7], v[4:5], s[16:17], v[2:3]
	v_add_f64 v[78:79], v[78:79], v[92:93]
	v_fma_f64 v[2:3], v[4:5], s[6:7], v[2:3]
	v_add_f64 v[0:1], v[0:1], v[76:77]
	v_fma_f64 v[6:7], v[10:11], s[18:19], v[6:7]
	v_fma_f64 v[2:3], v[10:11], s[8:9], v[2:3]
	v_fma_f64 v[92:93], v[78:79], s[14:15], v[6:7]
	v_add_f64 v[6:7], v[30:31], v[76:77]
	v_fma_f64 v[2:3], v[78:79], s[14:15], v[2:3]
	v_fma_f64 v[6:7], v[6:7], -0.5, v[120:121]
	v_fma_f64 v[78:79], v[10:11], s[6:7], v[6:7]
	v_fma_f64 v[6:7], v[10:11], s[16:17], v[6:7]
	;; [unrolled: 1-line block ×4, first 2 shown]
	v_add_f64 v[6:7], v[30:31], -v[76:77]
	v_add_f64 v[30:31], v[34:35], -v[38:39]
	;; [unrolled: 1-line block ×4, first 2 shown]
	v_fma_f64 v[78:79], v[102:103], s[14:15], v[78:79]
	v_fma_f64 v[102:103], v[102:103], s[14:15], v[4:5]
	v_add_f64 v[4:5], v[122:123], v[26:27]
	v_add_f64 v[34:35], v[34:35], v[38:39]
	;; [unrolled: 1-line block ×6, first 2 shown]
	v_fma_f64 v[4:5], v[4:5], -0.5, v[122:123]
	v_fma_f64 v[10:11], v[6:7], s[6:7], v[4:5]
	v_fma_f64 v[4:5], v[6:7], s[16:17], v[4:5]
	;; [unrolled: 1-line block ×6, first 2 shown]
	v_add_f64 v[4:5], v[26:27], v[72:73]
	v_add_f64 v[26:27], v[32:33], -v[26:27]
	v_add_f64 v[32:33], v[36:37], -v[72:73]
	;; [unrolled: 1-line block ×3, first 2 shown]
	v_fma_f64 v[4:5], v[4:5], -0.5, v[122:123]
	v_add_f64 v[26:27], v[26:27], v[32:33]
	v_add_f64 v[32:33], v[12:13], -v[18:19]
	v_fma_f64 v[10:11], v[30:31], s[16:17], v[4:5]
	v_fma_f64 v[4:5], v[30:31], s[6:7], v[4:5]
	v_add_f64 v[30:31], v[14:15], -v[20:21]
	v_add_f64 v[32:33], v[32:33], v[36:37]
	v_add_f64 v[36:37], v[18:19], -v[12:13]
	v_fma_f64 v[10:11], v[6:7], s[8:9], v[10:11]
	v_fma_f64 v[4:5], v[6:7], s[18:19], v[4:5]
	v_add_f64 v[6:7], v[60:61], -v[24:25]
	v_add_f64 v[36:37], v[36:37], v[118:119]
	v_fma_f64 v[34:35], v[26:27], s[14:15], v[10:11]
	v_fma_f64 v[72:73], v[26:27], s[14:15], v[4:5]
	v_add_f64 v[4:5], v[16:17], v[12:13]
	v_add_f64 v[4:5], v[4:5], v[18:19]
	;; [unrolled: 1-line block ×5, first 2 shown]
	v_fma_f64 v[4:5], v[4:5], -0.5, v[16:17]
	v_fma_f64 v[10:11], v[6:7], s[16:17], v[4:5]
	v_fma_f64 v[4:5], v[6:7], s[6:7], v[4:5]
	;; [unrolled: 1-line block ×6, first 2 shown]
	v_add_f64 v[4:5], v[12:13], v[28:29]
	v_fma_f64 v[4:5], v[4:5], -0.5, v[16:17]
	v_fma_f64 v[16:17], v[30:31], s[6:7], v[4:5]
	v_fma_f64 v[4:5], v[30:31], s[16:17], v[4:5]
	;; [unrolled: 1-line block ×4, first 2 shown]
	v_add_f64 v[6:7], v[12:13], -v[28:29]
	v_fma_f64 v[118:119], v[36:37], s[14:15], v[16:17]
	v_fma_f64 v[30:31], v[36:37], s[14:15], v[4:5]
	v_add_f64 v[4:5], v[8:9], v[60:61]
	v_add_f64 v[16:17], v[18:19], -v[22:23]
	v_add_f64 v[18:19], v[60:61], -v[14:15]
	;; [unrolled: 1-line block ×3, first 2 shown]
	v_add_f64 v[4:5], v[4:5], v[14:15]
	v_add_f64 v[18:19], v[18:19], v[22:23]
	;; [unrolled: 1-line block ×5, first 2 shown]
	v_add_f64 v[14:15], v[14:15], -v[60:61]
	v_fma_f64 v[4:5], v[4:5], -0.5, v[8:9]
	v_fma_f64 v[12:13], v[6:7], s[6:7], v[4:5]
	v_fma_f64 v[4:5], v[6:7], s[16:17], v[4:5]
	;; [unrolled: 1-line block ×6, first 2 shown]
	v_add_f64 v[4:5], v[60:61], v[24:25]
	v_add_f64 v[18:19], v[20:21], -v[24:25]
	v_fma_f64 v[4:5], v[4:5], -0.5, v[8:9]
	v_add_f64 v[14:15], v[14:15], v[18:19]
	v_fma_f64 v[8:9], v[16:17], s[16:17], v[4:5]
	v_fma_f64 v[4:5], v[16:17], s[6:7], v[4:5]
	;; [unrolled: 1-line block ×4, first 2 shown]
	v_mul_f64 v[6:7], v[12:13], s[18:19]
	v_mul_f64 v[12:13], v[12:13], s[20:21]
	v_fma_f64 v[18:19], v[14:15], s[14:15], v[8:9]
	v_fma_f64 v[14:15], v[14:15], s[14:15], v[4:5]
	v_fma_f64 v[24:25], v[10:11], s[20:21], v[6:7]
	v_fma_f64 v[144:145], v[10:11], s[8:9], v[12:13]
	v_add_f64 v[4:5], v[0:1], v[26:27]
	v_add_f64 v[0:1], v[0:1], -v[26:27]
	v_mul_f64 v[6:7], v[18:19], s[16:17]
	v_mul_f64 v[12:13], v[18:19], s[14:15]
	v_add_f64 v[8:9], v[92:93], v[24:25]
	v_add_f64 v[10:11], v[38:39], v[144:145]
	v_fma_f64 v[60:61], v[118:119], s[14:15], v[6:7]
	v_fma_f64 v[118:119], v[118:119], s[6:7], v[12:13]
	v_mul_f64 v[12:13], v[14:15], s[22:23]
	v_mul_f64 v[6:7], v[14:15], s[16:17]
	v_add_f64 v[14:15], v[38:39], -v[144:145]
	v_add_f64 v[16:17], v[78:79], v[60:61]
	v_add_f64 v[18:19], v[34:35], v[118:119]
	v_fma_f64 v[146:147], v[30:31], s[6:7], v[12:13]
	v_mul_f64 v[12:13], v[36:37], s[24:25]
	v_fma_f64 v[122:123], v[30:31], s[22:23], v[6:7]
	v_mul_f64 v[6:7], v[36:37], s[18:19]
	v_add_f64 v[26:27], v[34:35], -v[118:119]
	v_add_f64 v[118:119], v[116:117], -v[126:127]
	v_add_f64 v[22:23], v[72:73], v[146:147]
	v_fma_f64 v[148:149], v[32:33], s[8:9], v[12:13]
	v_add_f64 v[34:35], v[72:73], -v[146:147]
	v_add_f64 v[72:73], v[112:113], v[116:117]
	v_fma_f64 v[142:143], v[32:33], s[24:25], v[6:7]
	v_add_f64 v[20:21], v[102:103], v[122:123]
	v_add_f64 v[6:7], v[104:105], v[120:121]
	v_add_f64 v[12:13], v[92:93], -v[24:25]
	v_add_f64 v[24:25], v[78:79], -v[60:61]
	;; [unrolled: 1-line block ×5, first 2 shown]
	v_add_f64 v[60:61], v[80:81], v[108:109]
	v_add_f64 v[30:31], v[76:77], v[148:149]
	v_add_f64 v[38:39], v[76:77], -v[148:149]
	v_fma_f64 v[72:73], v[72:73], -0.5, v[80:81]
	v_add_f64 v[76:77], v[62:63], -v[114:115]
	v_add_f64 v[28:29], v[2:3], v[142:143]
	v_add_f64 v[36:37], v[2:3], -v[142:143]
	v_add_f64 v[2:3], v[104:105], -v[120:121]
	;; [unrolled: 1-line block ×3, first 2 shown]
	v_add_f64 v[60:61], v[60:61], v[112:113]
	v_fma_f64 v[78:79], v[76:77], s[16:17], v[72:73]
	v_fma_f64 v[72:73], v[76:77], s[6:7], v[72:73]
	v_add_f64 v[102:103], v[102:103], v[104:105]
	v_add_f64 v[104:105], v[112:113], -v[108:109]
	v_add_f64 v[60:61], v[60:61], v[116:117]
	v_fma_f64 v[78:79], v[92:93], s[18:19], v[78:79]
	v_fma_f64 v[72:73], v[92:93], s[8:9], v[72:73]
	v_add_f64 v[104:105], v[104:105], v[118:119]
	v_add_f64 v[60:61], v[60:61], v[126:127]
	v_fma_f64 v[78:79], v[102:103], s[14:15], v[78:79]
	v_fma_f64 v[72:73], v[102:103], s[14:15], v[72:73]
	v_add_f64 v[102:103], v[108:109], v[126:127]
	v_fma_f64 v[80:81], v[102:103], -0.5, v[80:81]
	v_fma_f64 v[102:103], v[92:93], s[6:7], v[80:81]
	v_fma_f64 v[80:81], v[92:93], s[16:17], v[80:81]
	v_add_f64 v[92:93], v[108:109], -v[126:127]
	v_add_f64 v[108:109], v[62:63], -v[106:107]
	v_fma_f64 v[102:103], v[76:77], s[18:19], v[102:103]
	v_fma_f64 v[76:77], v[76:77], s[8:9], v[80:81]
	v_add_f64 v[80:81], v[82:83], v[62:63]
	v_fma_f64 v[118:119], v[104:105], s[14:15], v[102:103]
	v_fma_f64 v[76:77], v[104:105], s[14:15], v[76:77]
	v_add_f64 v[80:81], v[80:81], v[106:107]
	v_add_f64 v[104:105], v[112:113], -v[116:117]
	v_add_f64 v[112:113], v[114:115], -v[110:111]
	v_add_f64 v[80:81], v[80:81], v[110:111]
	v_add_f64 v[108:109], v[108:109], v[112:113]
	;; [unrolled: 1-line block ×4, first 2 shown]
	v_fma_f64 v[80:81], v[80:81], -0.5, v[82:83]
	v_fma_f64 v[102:103], v[92:93], s[6:7], v[80:81]
	v_fma_f64 v[80:81], v[92:93], s[16:17], v[80:81]
	;; [unrolled: 1-line block ×6, first 2 shown]
	v_add_f64 v[80:81], v[62:63], v[114:115]
	v_add_f64 v[62:63], v[106:107], -v[62:63]
	v_add_f64 v[102:103], v[110:111], -v[114:115]
	;; [unrolled: 1-line block ×5, first 2 shown]
	v_fma_f64 v[80:81], v[80:81], -0.5, v[82:83]
	v_add_f64 v[62:63], v[62:63], v[102:103]
	v_add_f64 v[108:109], v[108:109], v[110:111]
	v_add_f64 v[110:111], v[96:97], -v[90:91]
	v_fma_f64 v[82:83], v[104:105], s[16:17], v[80:81]
	v_fma_f64 v[80:81], v[104:105], s[6:7], v[80:81]
	v_add_f64 v[104:105], v[88:89], -v[94:95]
	v_add_f64 v[110:111], v[110:111], v[114:115]
	v_fma_f64 v[82:83], v[92:93], s[8:9], v[82:83]
	v_fma_f64 v[80:81], v[92:93], s[18:19], v[80:81]
	v_add_f64 v[92:93], v[86:87], -v[100:101]
	v_fma_f64 v[106:107], v[62:63], s[14:15], v[82:83]
	v_add_f64 v[82:83], v[96:97], v[98:99]
	v_fma_f64 v[62:63], v[62:63], s[14:15], v[80:81]
	v_add_f64 v[80:81], v[74:75], v[90:91]
	v_fma_f64 v[82:83], v[82:83], -0.5, v[74:75]
	v_add_f64 v[80:81], v[80:81], v[96:97]
	v_add_f64 v[96:97], v[96:97], -v[98:99]
	v_fma_f64 v[102:103], v[92:93], s[16:17], v[82:83]
	v_fma_f64 v[82:83], v[92:93], s[6:7], v[82:83]
	v_add_f64 v[80:81], v[80:81], v[98:99]
	v_fma_f64 v[102:103], v[104:105], s[18:19], v[102:103]
	v_fma_f64 v[82:83], v[104:105], s[8:9], v[82:83]
	v_add_f64 v[80:81], v[80:81], v[124:125]
	;; [unrolled: 3-line block ×3, first 2 shown]
	v_add_f64 v[90:91], v[90:91], -v[124:125]
	v_fma_f64 v[74:75], v[108:109], -0.5, v[74:75]
	v_fma_f64 v[108:109], v[104:105], s[6:7], v[74:75]
	v_fma_f64 v[74:75], v[104:105], s[16:17], v[74:75]
	;; [unrolled: 1-line block ×4, first 2 shown]
	v_add_f64 v[92:93], v[84:85], v[86:87]
	v_fma_f64 v[114:115], v[110:111], s[14:15], v[108:109]
	v_add_f64 v[108:109], v[100:101], -v[94:95]
	v_add_f64 v[92:93], v[92:93], v[88:89]
	v_fma_f64 v[74:75], v[110:111], s[14:15], v[74:75]
	v_add_f64 v[92:93], v[92:93], v[94:95]
	v_add_f64 v[122:123], v[92:93], v[100:101]
	v_add_f64 v[92:93], v[88:89], v[94:95]
	v_fma_f64 v[92:93], v[92:93], -0.5, v[84:85]
	v_fma_f64 v[104:105], v[90:91], s[6:7], v[92:93]
	v_fma_f64 v[92:93], v[90:91], s[16:17], v[92:93]
	;; [unrolled: 1-line block ×3, first 2 shown]
	v_add_f64 v[104:105], v[86:87], -v[88:89]
	v_fma_f64 v[92:93], v[96:97], s[18:19], v[92:93]
	v_add_f64 v[104:105], v[104:105], v[108:109]
	v_fma_f64 v[98:99], v[104:105], s[14:15], v[98:99]
	v_fma_f64 v[92:93], v[104:105], s[14:15], v[92:93]
	v_add_f64 v[104:105], v[86:87], v[100:101]
	v_add_f64 v[86:87], v[88:89], -v[86:87]
	v_add_f64 v[88:89], v[94:95], -v[100:101]
	v_fma_f64 v[84:85], v[104:105], -0.5, v[84:85]
	v_add_f64 v[86:87], v[86:87], v[88:89]
	v_fma_f64 v[104:105], v[96:97], s[16:17], v[84:85]
	v_fma_f64 v[84:85], v[96:97], s[6:7], v[84:85]
	;; [unrolled: 1-line block ×4, first 2 shown]
	v_mul_f64 v[90:91], v[98:99], s[20:21]
	v_fma_f64 v[94:95], v[86:87], s[14:15], v[104:105]
	v_fma_f64 v[104:105], v[86:87], s[14:15], v[84:85]
	v_mul_f64 v[86:87], v[98:99], s[18:19]
	v_fma_f64 v[146:147], v[102:103], s[8:9], v[90:91]
	v_add_f64 v[84:85], v[60:61], v[80:81]
	v_add_f64 v[80:81], v[60:61], -v[80:81]
	v_fma_f64 v[124:125], v[102:103], s[20:21], v[86:87]
	v_mul_f64 v[86:87], v[94:95], s[16:17]
	v_mul_f64 v[94:95], v[94:95], s[14:15]
	v_add_f64 v[90:91], v[112:113], v[146:147]
	v_add_f64 v[88:89], v[78:79], v[124:125]
	v_fma_f64 v[126:127], v[114:115], s[14:15], v[86:87]
	v_mul_f64 v[86:87], v[104:105], s[16:17]
	v_fma_f64 v[114:115], v[114:115], s[6:7], v[94:95]
	v_mul_f64 v[94:95], v[104:105], s[22:23]
	v_add_f64 v[104:105], v[118:119], -v[126:127]
	v_fma_f64 v[142:143], v[74:75], s[22:23], v[86:87]
	v_mul_f64 v[86:87], v[92:93], s[18:19]
	v_mul_f64 v[92:93], v[92:93], s[24:25]
	v_fma_f64 v[74:75], v[74:75], s[6:7], v[94:95]
	v_add_f64 v[98:99], v[106:107], v[114:115]
	v_add_f64 v[106:107], v[106:107], -v[114:115]
	v_add_f64 v[96:97], v[118:119], v[126:127]
	v_add_f64 v[94:95], v[112:113], -v[146:147]
	v_add_f64 v[100:101], v[76:77], v[142:143]
	v_fma_f64 v[144:145], v[82:83], s[24:25], v[86:87]
	v_fma_f64 v[148:149], v[82:83], s[8:9], v[92:93]
	v_add_f64 v[86:87], v[120:121], v[122:123]
	v_add_f64 v[102:103], v[62:63], v[74:75]
	v_add_f64 v[82:83], v[120:121], -v[122:123]
	v_add_f64 v[92:93], v[78:79], -v[124:125]
	v_add_f64 v[252:253], v[76:77], -v[142:143]
	v_add_f64 v[254:255], v[62:63], -v[74:75]
	v_add_f64 v[108:109], v[72:73], v[144:145]
	v_add_f64 v[110:111], v[116:117], v[148:149]
	v_add_f64 v[244:245], v[72:73], -v[144:145]
	v_add_f64 v[246:247], v[116:117], -v[148:149]
	ds_write_b128 v163, v[138:141]
	ds_write_b128 v163, v[64:67] offset:48
	ds_write_b128 v163, v[68:71] offset:96
	ds_write_b128 v163, v[134:137] offset:144
	ds_write_b128 v163, v[130:133] offset:192
	ds_write_b128 v163, v[40:43] offset:240
	ds_write_b128 v163, v[44:47] offset:288
	ds_write_b128 v163, v[48:51] offset:336
	ds_write_b128 v163, v[52:55] offset:384
	ds_write_b128 v163, v[56:59] offset:432
	ds_write_b128 v184, v[4:7]
	ds_write_b128 v184, v[8:11] offset:48
	ds_write_b128 v184, v[16:19] offset:96
	ds_write_b128 v184, v[20:23] offset:144
	ds_write_b128 v184, v[28:31] offset:192
	ds_write_b128 v184, v[0:3] offset:240
	ds_write_b128 v184, v[12:15] offset:288
	ds_write_b128 v184, v[24:27] offset:336
	ds_write_b128 v184, v[32:35] offset:384
	ds_write_b128 v184, v[36:39] offset:432
	;; [unrolled: 10-line block ×3, first 2 shown]
	s_waitcnt lgkmcnt(0)
	s_barrier
	buffer_gl0_inv
	ds_read_b128 v[8:11], v128
	ds_read_b128 v[12:15], v128 offset:4320
	ds_read_b128 v[16:19], v128 offset:8640
	;; [unrolled: 1-line block ×29, first 2 shown]
	s_clause 0x3
	buffer_load_dword v68, off, s[28:31], 0 offset:876
	buffer_load_dword v69, off, s[28:31], 0 offset:880
	;; [unrolled: 1-line block ×4, first 2 shown]
	s_waitcnt vmcnt(0) lgkmcnt(28)
	v_mul_f64 v[28:29], v[70:71], v[14:15]
	v_fma_f64 v[150:151], v[68:69], v[12:13], v[28:29]
	v_mul_f64 v[12:13], v[70:71], v[12:13]
	v_fma_f64 v[28:29], v[68:69], v[14:15], -v[12:13]
	s_clause 0x3
	buffer_load_dword v68, off, s[28:31], 0 offset:892
	buffer_load_dword v69, off, s[28:31], 0 offset:896
	;; [unrolled: 1-line block ×4, first 2 shown]
	s_waitcnt vmcnt(0) lgkmcnt(27)
	v_mul_f64 v[12:13], v[70:71], v[18:19]
	v_fma_f64 v[162:163], v[68:69], v[16:17], v[12:13]
	v_mul_f64 v[12:13], v[70:71], v[16:17]
	s_clause 0x3
	buffer_load_dword v14, off, s[28:31], 0 offset:908
	buffer_load_dword v15, off, s[28:31], 0 offset:912
	buffer_load_dword v16, off, s[28:31], 0 offset:916
	buffer_load_dword v17, off, s[28:31], 0 offset:920
	v_fma_f64 v[182:183], v[68:69], v[18:19], -v[12:13]
	s_waitcnt vmcnt(0) lgkmcnt(26)
	v_mul_f64 v[12:13], v[16:17], v[22:23]
	v_fma_f64 v[244:245], v[14:15], v[20:21], v[12:13]
	v_mul_f64 v[12:13], v[16:17], v[20:21]
	v_fma_f64 v[30:31], v[14:15], v[22:23], -v[12:13]
	s_clause 0x3
	buffer_load_dword v14, off, s[28:31], 0 offset:924
	buffer_load_dword v15, off, s[28:31], 0 offset:928
	buffer_load_dword v16, off, s[28:31], 0 offset:932
	buffer_load_dword v17, off, s[28:31], 0 offset:936
	s_waitcnt vmcnt(0) lgkmcnt(25)
	v_mul_f64 v[12:13], v[16:17], v[26:27]
	v_fma_f64 v[246:247], v[14:15], v[24:25], v[12:13]
	v_mul_f64 v[12:13], v[16:17], v[24:25]
	v_fma_f64 v[252:253], v[14:15], v[26:27], -v[12:13]
	s_clause 0x3
	buffer_load_dword v14, off, s[28:31], 0 offset:988
	buffer_load_dword v15, off, s[28:31], 0 offset:992
	buffer_load_dword v16, off, s[28:31], 0 offset:996
	buffer_load_dword v17, off, s[28:31], 0 offset:1000
	;; [unrolled: 10-line block ×8, first 2 shown]
	s_waitcnt vmcnt(0) lgkmcnt(17)
	v_mul_f64 v[12:13], v[16:17], v[58:59]
	v_fma_f64 v[90:91], v[14:15], v[56:57], v[12:13]
	v_mul_f64 v[12:13], v[16:17], v[56:57]
	v_add_f64 v[56:57], v[182:183], -v[44:45]
	v_fma_f64 v[86:87], v[14:15], v[58:59], -v[12:13]
	s_clause 0x3
	buffer_load_dword v14, off, s[28:31], 0 offset:1116
	buffer_load_dword v15, off, s[28:31], 0 offset:1120
	;; [unrolled: 1-line block ×4, first 2 shown]
	v_add_f64 v[58:59], v[162:163], -v[246:247]
	s_waitcnt vmcnt(0) lgkmcnt(16)
	v_mul_f64 v[12:13], v[16:17], v[62:63]
	v_fma_f64 v[72:73], v[14:15], v[60:61], v[12:13]
	v_mul_f64 v[12:13], v[16:17], v[60:61]
	v_add_f64 v[60:61], v[252:253], -v[36:37]
	v_fma_f64 v[70:71], v[14:15], v[62:63], -v[12:13]
	s_clause 0x3
	buffer_load_dword v14, off, s[28:31], 0 offset:1084
	buffer_load_dword v15, off, s[28:31], 0 offset:1088
	;; [unrolled: 1-line block ×4, first 2 shown]
	v_add_f64 v[62:63], v[42:43], -v[34:35]
	v_add_f64 v[58:59], v[58:59], v[62:63]
	v_add_f64 v[62:63], v[246:247], -v[162:163]
	s_waitcnt vmcnt(0) lgkmcnt(15)
	v_mul_f64 v[12:13], v[16:17], v[66:67]
	v_fma_f64 v[94:95], v[14:15], v[64:65], v[12:13]
	v_mul_f64 v[12:13], v[16:17], v[64:65]
	v_add_f64 v[64:65], v[34:35], -v[42:43]
	v_fma_f64 v[92:93], v[14:15], v[66:67], -v[12:13]
	s_clause 0x3
	buffer_load_dword v14, off, s[28:31], 0 offset:1164
	buffer_load_dword v15, off, s[28:31], 0 offset:1168
	;; [unrolled: 1-line block ×4, first 2 shown]
	v_add_f64 v[62:63], v[62:63], v[64:65]
	v_add_f64 v[64:65], v[46:47], -v[38:39]
	s_waitcnt vmcnt(0) lgkmcnt(14)
	v_mul_f64 v[12:13], v[16:17], v[82:83]
	v_fma_f64 v[78:79], v[14:15], v[80:81], v[12:13]
	v_mul_f64 v[12:13], v[16:17], v[80:81]
	v_fma_f64 v[74:75], v[14:15], v[82:83], -v[12:13]
	s_clause 0x3
	buffer_load_dword v14, off, s[28:31], 0 offset:1196
	buffer_load_dword v15, off, s[28:31], 0 offset:1200
	buffer_load_dword v16, off, s[28:31], 0 offset:1204
	buffer_load_dword v17, off, s[28:31], 0 offset:1208
	s_waitcnt vmcnt(0) lgkmcnt(13)
	v_mul_f64 v[12:13], v[16:17], v[102:103]
	v_fma_f64 v[98:99], v[14:15], v[100:101], v[12:13]
	v_mul_f64 v[12:13], v[16:17], v[100:101]
	v_fma_f64 v[96:97], v[14:15], v[102:103], -v[12:13]
	s_clause 0x3
	buffer_load_dword v14, off, s[28:31], 0 offset:1212
	buffer_load_dword v15, off, s[28:31], 0 offset:1216
	buffer_load_dword v16, off, s[28:31], 0 offset:1220
	buffer_load_dword v17, off, s[28:31], 0 offset:1224
	;; [unrolled: 10-line block ×5, first 2 shown]
	s_waitcnt vmcnt(0) lgkmcnt(8)
	v_mul_f64 v[12:13], v[16:17], v[118:119]
	v_fma_f64 v[20:21], v[14:15], v[116:117], v[12:13]
	v_mul_f64 v[12:13], v[16:17], v[116:117]
	s_clause 0x7
	buffer_load_dword v16, off, s[28:31], 0 offset:1324
	buffer_load_dword v17, off, s[28:31], 0 offset:1328
	;; [unrolled: 1-line block ×8, first 2 shown]
	v_fma_f64 v[12:13], v[14:15], v[118:119], -v[12:13]
	s_waitcnt vmcnt(4) lgkmcnt(7)
	v_mul_f64 v[14:15], v[18:19], v[122:123]
	v_fma_f64 v[116:117], v[16:17], v[120:121], v[14:15]
	v_mul_f64 v[14:15], v[18:19], v[120:121]
	v_fma_f64 v[112:113], v[16:17], v[122:123], -v[14:15]
	s_waitcnt vmcnt(0) lgkmcnt(6)
	v_mul_f64 v[14:15], v[24:25], v[126:127]
	v_fma_f64 v[18:19], v[22:23], v[124:125], v[14:15]
	v_mul_f64 v[14:15], v[24:25], v[124:125]
	v_fma_f64 v[14:15], v[22:23], v[126:127], -v[14:15]
	s_clause 0x7
	buffer_load_dword v22, off, s[28:31], 0 offset:1356
	buffer_load_dword v23, off, s[28:31], 0 offset:1360
	buffer_load_dword v24, off, s[28:31], 0 offset:1364
	buffer_load_dword v25, off, s[28:31], 0 offset:1368
	buffer_load_dword v52, off, s[28:31], 0 offset:1404
	buffer_load_dword v53, off, s[28:31], 0 offset:1408
	buffer_load_dword v54, off, s[28:31], 0 offset:1412
	buffer_load_dword v55, off, s[28:31], 0 offset:1416
	s_waitcnt vmcnt(4) lgkmcnt(5)
	v_mul_f64 v[16:17], v[24:25], v[132:133]
	v_fma_f64 v[120:121], v[22:23], v[130:131], v[16:17]
	v_mul_f64 v[16:17], v[24:25], v[130:131]
	v_add_f64 v[130:131], v[254:255], -v[244:245]
	v_fma_f64 v[114:115], v[22:23], v[132:133], -v[16:17]
	s_waitcnt vmcnt(0) lgkmcnt(4)
	v_mul_f64 v[16:17], v[54:55], v[136:137]
	v_add_f64 v[132:133], v[38:39], -v[46:47]
	v_fma_f64 v[24:25], v[52:53], v[134:135], v[16:17]
	v_mul_f64 v[16:17], v[54:55], v[134:135]
	v_add_f64 v[130:131], v[130:131], v[132:133]
	v_add_f64 v[132:133], v[30:31], -v[32:33]
	v_add_f64 v[134:135], v[50:51], -v[40:41]
	v_fma_f64 v[16:17], v[52:53], v[136:137], -v[16:17]
	s_clause 0x3
	buffer_load_dword v52, off, s[28:31], 0 offset:1420
	buffer_load_dword v53, off, s[28:31], 0 offset:1424
	;; [unrolled: 1-line block ×4, first 2 shown]
	v_add_f64 v[132:133], v[132:133], v[134:135]
	s_waitcnt vmcnt(0) lgkmcnt(3)
	v_mul_f64 v[22:23], v[54:55], v[140:141]
	v_fma_f64 v[124:125], v[52:53], v[138:139], v[22:23]
	v_mul_f64 v[22:23], v[54:55], v[138:139]
	v_fma_f64 v[118:119], v[52:53], v[140:141], -v[22:23]
	s_clause 0x3
	buffer_load_dword v52, off, s[28:31], 0 offset:1436
	buffer_load_dword v53, off, s[28:31], 0 offset:1440
	buffer_load_dword v54, off, s[28:31], 0 offset:1444
	buffer_load_dword v55, off, s[28:31], 0 offset:1448
	s_waitcnt vmcnt(0) lgkmcnt(2)
	v_mul_f64 v[22:23], v[54:55], v[144:145]
	v_fma_f64 v[26:27], v[52:53], v[142:143], v[22:23]
	v_mul_f64 v[22:23], v[54:55], v[142:143]
	v_fma_f64 v[22:23], v[52:53], v[144:145], -v[22:23]
	s_clause 0x3
	buffer_load_dword v52, off, s[28:31], 0 offset:1452
	buffer_load_dword v53, off, s[28:31], 0 offset:1456
	buffer_load_dword v54, off, s[28:31], 0 offset:1460
	buffer_load_dword v55, off, s[28:31], 0 offset:1464
	;; [unrolled: 10-line block ×3, first 2 shown]
	s_waitcnt vmcnt(0) lgkmcnt(0)
	s_barrier
	buffer_gl0_inv
	v_mul_f64 v[48:49], v[54:55], v[189:190]
	v_fma_f64 v[110:111], v[52:53], v[187:188], v[48:49]
	v_mul_f64 v[48:49], v[54:55], v[187:188]
	v_fma_f64 v[108:109], v[52:53], v[189:190], -v[48:49]
	v_add_f64 v[52:53], v[246:247], v[34:35]
	v_add_f64 v[48:49], v[8:9], v[162:163]
	v_fma_f64 v[54:55], v[52:53], -0.5, v[8:9]
	v_add_f64 v[48:49], v[48:49], v[246:247]
	v_fma_f64 v[52:53], v[56:57], s[16:17], v[54:55]
	v_fma_f64 v[54:55], v[56:57], s[6:7], v[54:55]
	v_add_f64 v[48:49], v[48:49], v[34:35]
	v_add_f64 v[34:35], v[246:247], -v[34:35]
	v_fma_f64 v[52:53], v[60:61], s[18:19], v[52:53]
	v_fma_f64 v[54:55], v[60:61], s[8:9], v[54:55]
	v_add_f64 v[48:49], v[48:49], v[42:43]
	v_fma_f64 v[52:53], v[58:59], s[14:15], v[52:53]
	v_fma_f64 v[58:59], v[58:59], s[14:15], v[54:55]
	v_add_f64 v[54:55], v[162:163], v[42:43]
	v_add_f64 v[42:43], v[162:163], -v[42:43]
	v_fma_f64 v[8:9], v[54:55], -0.5, v[8:9]
	v_fma_f64 v[54:55], v[60:61], s[6:7], v[8:9]
	v_fma_f64 v[8:9], v[60:61], s[16:17], v[8:9]
	v_add_f64 v[60:61], v[44:45], -v[36:37]
	v_fma_f64 v[54:55], v[56:57], s[18:19], v[54:55]
	v_fma_f64 v[8:9], v[56:57], s[8:9], v[8:9]
	v_add_f64 v[56:57], v[182:183], -v[252:253]
	v_fma_f64 v[66:67], v[62:63], s[14:15], v[54:55]
	v_fma_f64 v[62:63], v[62:63], s[14:15], v[8:9]
	v_add_f64 v[8:9], v[10:11], v[182:183]
	v_add_f64 v[56:57], v[56:57], v[60:61]
	v_add_f64 v[60:61], v[252:253], -v[182:183]
	v_add_f64 v[8:9], v[8:9], v[252:253]
	v_add_f64 v[8:9], v[8:9], v[36:37]
	;; [unrolled: 1-line block ×4, first 2 shown]
	v_add_f64 v[36:37], v[36:37], -v[44:45]
	v_fma_f64 v[8:9], v[8:9], -0.5, v[10:11]
	v_add_f64 v[36:37], v[60:61], v[36:37]
	v_add_f64 v[60:61], v[244:245], -v[254:255]
	v_fma_f64 v[54:55], v[42:43], s[6:7], v[8:9]
	v_fma_f64 v[8:9], v[42:43], s[16:17], v[8:9]
	v_add_f64 v[60:61], v[60:61], v[64:65]
	v_fma_f64 v[54:55], v[34:35], s[8:9], v[54:55]
	v_fma_f64 v[8:9], v[34:35], s[18:19], v[8:9]
	;; [unrolled: 1-line block ×4, first 2 shown]
	v_add_f64 v[56:57], v[182:183], v[44:45]
	v_add_f64 v[44:45], v[32:33], -v[40:41]
	v_fma_f64 v[10:11], v[56:57], -0.5, v[10:11]
	v_fma_f64 v[56:57], v[34:35], s[16:17], v[10:11]
	v_fma_f64 v[10:11], v[34:35], s[6:7], v[10:11]
	v_add_f64 v[34:35], v[150:151], v[244:245]
	v_fma_f64 v[56:57], v[42:43], s[8:9], v[56:57]
	v_fma_f64 v[10:11], v[42:43], s[18:19], v[10:11]
	v_add_f64 v[34:35], v[34:35], v[254:255]
	;; [unrolled: 3-line block ×3, first 2 shown]
	v_add_f64 v[36:37], v[30:31], -v[50:51]
	v_add_f64 v[56:57], v[34:35], v[46:47]
	v_add_f64 v[34:35], v[254:255], v[38:39]
	v_add_f64 v[38:39], v[254:255], -v[38:39]
	v_fma_f64 v[34:35], v[34:35], -0.5, v[150:151]
	v_fma_f64 v[42:43], v[36:37], s[16:17], v[34:35]
	v_fma_f64 v[34:35], v[36:37], s[6:7], v[34:35]
	v_fma_f64 v[42:43], v[44:45], s[18:19], v[42:43]
	v_fma_f64 v[34:35], v[44:45], s[8:9], v[34:35]
	v_fma_f64 v[42:43], v[60:61], s[14:15], v[42:43]
	v_fma_f64 v[60:61], v[60:61], s[14:15], v[34:35]
	v_add_f64 v[34:35], v[244:245], v[46:47]
	v_fma_f64 v[34:35], v[34:35], -0.5, v[150:151]
	v_fma_f64 v[64:65], v[44:45], s[6:7], v[34:35]
	v_fma_f64 v[34:35], v[44:45], s[16:17], v[34:35]
	v_add_f64 v[44:45], v[244:245], -v[46:47]
	v_fma_f64 v[64:65], v[36:37], s[18:19], v[64:65]
	v_fma_f64 v[34:35], v[36:37], s[8:9], v[34:35]
	v_add_f64 v[36:37], v[28:29], v[30:31]
	v_fma_f64 v[64:65], v[130:131], s[14:15], v[64:65]
	v_fma_f64 v[34:35], v[130:131], s[14:15], v[34:35]
	v_add_f64 v[36:37], v[36:37], v[32:33]
	v_add_f64 v[36:37], v[36:37], v[40:41]
	;; [unrolled: 1-line block ×4, first 2 shown]
	v_fma_f64 v[36:37], v[36:37], -0.5, v[28:29]
	v_fma_f64 v[46:47], v[44:45], s[6:7], v[36:37]
	v_fma_f64 v[36:37], v[44:45], s[16:17], v[36:37]
	;; [unrolled: 1-line block ×6, first 2 shown]
	v_add_f64 v[36:37], v[30:31], v[50:51]
	v_add_f64 v[30:31], v[32:33], -v[30:31]
	v_add_f64 v[32:33], v[40:41], -v[50:51]
	v_add_f64 v[46:47], v[106:107], v[130:131]
	v_fma_f64 v[28:29], v[36:37], -0.5, v[28:29]
	v_add_f64 v[30:31], v[30:31], v[32:33]
	v_fma_f64 v[36:37], v[38:39], s[16:17], v[28:29]
	v_fma_f64 v[28:29], v[38:39], s[6:7], v[28:29]
	v_mul_f64 v[38:39], v[134:135], s[20:21]
	v_fma_f64 v[36:37], v[44:45], s[8:9], v[36:37]
	v_fma_f64 v[28:29], v[44:45], s[18:19], v[28:29]
	v_add_f64 v[44:45], v[48:49], v[56:57]
	v_fma_f64 v[50:51], v[30:31], s[14:15], v[36:37]
	v_fma_f64 v[30:31], v[30:31], s[14:15], v[28:29]
	v_mul_f64 v[28:29], v[134:135], s[18:19]
	v_fma_f64 v[134:135], v[42:43], s[8:9], v[38:39]
	v_mul_f64 v[38:39], v[50:51], s[14:15]
	;; [unrolled: 2-line block ×3, first 2 shown]
	v_add_f64 v[42:43], v[54:55], v[134:135]
	v_fma_f64 v[50:51], v[64:65], s[6:7], v[38:39]
	v_add_f64 v[40:41], v[52:53], v[136:137]
	v_fma_f64 v[138:139], v[64:65], s[14:15], v[28:29]
	v_mul_f64 v[28:29], v[30:31], s[16:17]
	v_mul_f64 v[30:31], v[30:31], s[22:23]
	v_add_f64 v[64:65], v[48:49], -v[56:57]
	v_add_f64 v[38:39], v[104:105], v[50:51]
	v_add_f64 v[36:37], v[66:67], v[138:139]
	v_fma_f64 v[140:141], v[34:35], s[22:23], v[28:29]
	v_mul_f64 v[28:29], v[132:133], s[18:19]
	v_fma_f64 v[144:145], v[34:35], s[6:7], v[30:31]
	v_mul_f64 v[30:31], v[132:133], s[24:25]
	v_add_f64 v[56:57], v[66:67], -v[138:139]
	v_add_f64 v[66:67], v[106:107], -v[130:131]
	;; [unrolled: 1-line block ×3, first 2 shown]
	v_add_f64 v[32:33], v[62:63], v[140:141]
	v_fma_f64 v[142:143], v[60:61], s[24:25], v[28:29]
	v_add_f64 v[34:35], v[10:11], v[144:145]
	v_fma_f64 v[132:133], v[60:61], s[8:9], v[30:31]
	v_add_f64 v[60:61], v[52:53], -v[136:137]
	v_add_f64 v[52:53], v[62:63], -v[140:141]
	;; [unrolled: 1-line block ×4, first 2 shown]
	v_add_f64 v[10:11], v[94:95], v[98:99]
	v_add_f64 v[134:135], v[102:103], -v[98:99]
	v_add_f64 v[136:137], v[98:99], -v[102:103]
	v_add_f64 v[28:29], v[58:59], v[142:143]
	v_add_f64 v[48:49], v[58:59], -v[142:143]
	v_add_f64 v[58:59], v[104:105], -v[50:51]
	;; [unrolled: 1-line block ×3, first 2 shown]
	v_add_f64 v[30:31], v[8:9], v[132:133]
	v_add_f64 v[50:51], v[8:9], -v[132:133]
	v_add_f64 v[132:133], v[90:91], -v[94:95]
	v_fma_f64 v[10:11], v[10:11], -0.5, v[4:5]
	v_add_f64 v[8:9], v[4:5], v[90:91]
	v_add_f64 v[132:133], v[132:133], v[134:135]
	v_fma_f64 v[106:107], v[104:105], s[16:17], v[10:11]
	v_fma_f64 v[10:11], v[104:105], s[6:7], v[10:11]
	v_add_f64 v[8:9], v[8:9], v[94:95]
	v_add_f64 v[134:135], v[94:95], -v[90:91]
	v_add_f64 v[94:95], v[94:95], -v[98:99]
	v_fma_f64 v[106:107], v[130:131], s[18:19], v[106:107]
	v_fma_f64 v[10:11], v[130:131], s[8:9], v[10:11]
	v_add_f64 v[8:9], v[8:9], v[98:99]
	v_add_f64 v[134:135], v[134:135], v[136:137]
	v_fma_f64 v[106:107], v[132:133], s[14:15], v[106:107]
	v_fma_f64 v[10:11], v[132:133], s[14:15], v[10:11]
	v_add_f64 v[132:133], v[90:91], v[102:103]
	v_add_f64 v[90:91], v[90:91], -v[102:103]
	v_add_f64 v[8:9], v[8:9], v[102:103]
	v_fma_f64 v[4:5], v[132:133], -0.5, v[4:5]
	v_fma_f64 v[132:133], v[130:131], s[6:7], v[4:5]
	v_fma_f64 v[4:5], v[130:131], s[16:17], v[4:5]
	;; [unrolled: 1-line block ×4, first 2 shown]
	v_add_f64 v[104:105], v[6:7], v[86:87]
	v_fma_f64 v[132:133], v[134:135], s[14:15], v[132:133]
	v_fma_f64 v[4:5], v[134:135], s[14:15], v[4:5]
	v_add_f64 v[104:105], v[104:105], v[92:93]
	v_add_f64 v[134:135], v[100:101], -v[96:97]
	v_add_f64 v[104:105], v[104:105], v[96:97]
	v_add_f64 v[130:131], v[104:105], v[100:101]
	v_add_f64 v[104:105], v[92:93], v[96:97]
	v_fma_f64 v[104:105], v[104:105], -0.5, v[6:7]
	v_fma_f64 v[102:103], v[90:91], s[6:7], v[104:105]
	v_fma_f64 v[98:99], v[94:95], s[8:9], v[102:103]
	v_add_f64 v[102:103], v[86:87], -v[92:93]
	v_add_f64 v[102:103], v[102:103], v[134:135]
	v_fma_f64 v[134:135], v[102:103], s[14:15], v[98:99]
	v_fma_f64 v[98:99], v[90:91], s[16:17], v[104:105]
	;; [unrolled: 1-line block ×4, first 2 shown]
	v_add_f64 v[98:99], v[86:87], v[100:101]
	v_add_f64 v[86:87], v[92:93], -v[86:87]
	v_add_f64 v[92:93], v[96:97], -v[100:101]
	;; [unrolled: 1-line block ×4, first 2 shown]
	v_fma_f64 v[6:7], v[98:99], -0.5, v[6:7]
	v_add_f64 v[86:87], v[86:87], v[92:93]
	v_fma_f64 v[98:99], v[94:95], s[16:17], v[6:7]
	v_fma_f64 v[6:7], v[94:95], s[6:7], v[6:7]
	;; [unrolled: 1-line block ×4, first 2 shown]
	v_add_f64 v[90:91], v[70:71], -v[84:85]
	v_fma_f64 v[138:139], v[86:87], s[14:15], v[98:99]
	v_fma_f64 v[6:7], v[86:87], s[14:15], v[6:7]
	v_add_f64 v[86:87], v[76:77], v[72:73]
	v_add_f64 v[98:99], v[72:73], -v[78:79]
	v_add_f64 v[86:87], v[86:87], v[78:79]
	v_add_f64 v[98:99], v[98:99], v[100:101]
	v_add_f64 v[100:101], v[82:83], -v[88:89]
	v_add_f64 v[86:87], v[86:87], v[82:83]
	v_add_f64 v[92:93], v[86:87], v[88:89]
	;; [unrolled: 1-line block ×3, first 2 shown]
	v_fma_f64 v[86:87], v[86:87], -0.5, v[76:77]
	v_fma_f64 v[94:95], v[90:91], s[16:17], v[86:87]
	v_fma_f64 v[86:87], v[90:91], s[6:7], v[86:87]
	;; [unrolled: 1-line block ×6, first 2 shown]
	v_add_f64 v[86:87], v[72:73], v[88:89]
	v_add_f64 v[98:99], v[78:79], -v[72:73]
	v_add_f64 v[72:73], v[72:73], -v[88:89]
	;; [unrolled: 1-line block ×3, first 2 shown]
	v_fma_f64 v[76:77], v[86:87], -0.5, v[76:77]
	v_add_f64 v[98:99], v[98:99], v[100:101]
	v_add_f64 v[100:101], v[8:9], v[92:93]
	v_fma_f64 v[86:87], v[96:97], s[6:7], v[76:77]
	v_fma_f64 v[76:77], v[96:97], s[16:17], v[76:77]
	;; [unrolled: 1-line block ×4, first 2 shown]
	v_add_f64 v[90:91], v[84:85], -v[80:81]
	v_fma_f64 v[86:87], v[98:99], s[14:15], v[86:87]
	v_fma_f64 v[140:141], v[98:99], s[14:15], v[76:77]
	v_add_f64 v[76:77], v[68:69], v[70:71]
	v_add_f64 v[76:77], v[76:77], v[74:75]
	;; [unrolled: 1-line block ×6, first 2 shown]
	v_fma_f64 v[76:77], v[76:77], -0.5, v[68:69]
	v_fma_f64 v[88:89], v[72:73], s[6:7], v[76:77]
	v_fma_f64 v[76:77], v[72:73], s[16:17], v[76:77]
	;; [unrolled: 1-line block ×3, first 2 shown]
	v_add_f64 v[88:89], v[70:71], -v[74:75]
	v_fma_f64 v[76:77], v[78:79], s[18:19], v[76:77]
	v_add_f64 v[88:89], v[88:89], v[90:91]
	v_fma_f64 v[144:145], v[88:89], s[14:15], v[76:77]
	v_add_f64 v[76:77], v[70:71], v[84:85]
	v_add_f64 v[70:71], v[74:75], -v[70:71]
	v_add_f64 v[74:75], v[80:81], -v[84:85]
	v_fma_f64 v[82:83], v[88:89], s[14:15], v[82:83]
	v_fma_f64 v[68:69], v[76:77], -0.5, v[68:69]
	v_add_f64 v[70:71], v[70:71], v[74:75]
	v_fma_f64 v[76:77], v[78:79], s[16:17], v[68:69]
	v_fma_f64 v[68:69], v[78:79], s[6:7], v[68:69]
	v_mul_f64 v[78:79], v[82:83], s[20:21]
	v_fma_f64 v[76:77], v[72:73], s[8:9], v[76:77]
	v_fma_f64 v[68:69], v[72:73], s[18:19], v[68:69]
	;; [unrolled: 1-line block ×4, first 2 shown]
	v_mul_f64 v[70:71], v[82:83], s[18:19]
	v_fma_f64 v[82:83], v[94:95], s[8:9], v[78:79]
	v_mul_f64 v[72:73], v[74:75], s[16:17]
	v_mul_f64 v[76:77], v[68:69], s[16:17]
	;; [unrolled: 1-line block ×3, first 2 shown]
	v_fma_f64 v[70:71], v[94:95], s[20:21], v[70:71]
	v_mul_f64 v[74:75], v[74:75], s[14:15]
	v_add_f64 v[98:99], v[134:135], v[82:83]
	v_add_f64 v[94:95], v[134:135], -v[82:83]
	v_add_f64 v[134:135], v[126:127], -v[124:125]
	v_fma_f64 v[72:73], v[86:87], s[14:15], v[72:73]
	v_fma_f64 v[146:147], v[140:141], s[22:23], v[76:77]
	v_mul_f64 v[76:77], v[144:145], s[18:19]
	v_fma_f64 v[140:141], v[140:141], s[6:7], v[68:69]
	v_mul_f64 v[68:69], v[144:145], s[24:25]
	v_add_f64 v[96:97], v[106:107], v[70:71]
	v_fma_f64 v[74:75], v[86:87], s[6:7], v[74:75]
	v_add_f64 v[88:89], v[132:133], v[72:73]
	v_add_f64 v[84:85], v[4:5], v[146:147]
	v_add_f64 v[80:81], v[132:133], -v[72:73]
	v_add_f64 v[72:73], v[4:5], -v[146:147]
	v_add_f64 v[4:5], v[0:1], v[116:117]
	v_fma_f64 v[148:149], v[104:105], s[24:25], v[76:77]
	v_fma_f64 v[144:145], v[104:105], s[8:9], v[68:69]
	v_add_f64 v[104:105], v[8:9], -v[92:93]
	v_add_f64 v[92:93], v[106:107], -v[70:71]
	;; [unrolled: 1-line block ×3, first 2 shown]
	v_add_f64 v[90:91], v[138:139], v[74:75]
	v_add_f64 v[86:87], v[6:7], v[140:141]
	v_add_f64 v[82:83], v[138:139], -v[74:75]
	v_add_f64 v[74:75], v[6:7], -v[140:141]
	;; [unrolled: 1-line block ×4, first 2 shown]
	v_add_f64 v[4:5], v[4:5], v[120:121]
	v_add_f64 v[76:77], v[10:11], v[148:149]
	v_add_f64 v[68:69], v[10:11], -v[148:149]
	v_add_f64 v[10:11], v[114:115], -v[118:119]
	v_add_f64 v[78:79], v[136:137], v[144:145]
	v_add_f64 v[70:71], v[136:137], -v[144:145]
	v_add_f64 v[132:133], v[132:133], v[134:135]
	v_add_f64 v[4:5], v[4:5], v[124:125]
	;; [unrolled: 1-line block ×4, first 2 shown]
	v_fma_f64 v[4:5], v[4:5], -0.5, v[0:1]
	v_fma_f64 v[8:9], v[6:7], s[16:17], v[4:5]
	v_fma_f64 v[4:5], v[6:7], s[6:7], v[4:5]
	;; [unrolled: 1-line block ×6, first 2 shown]
	v_add_f64 v[4:5], v[116:117], v[126:127]
	v_add_f64 v[8:9], v[120:121], -v[116:117]
	v_add_f64 v[132:133], v[124:125], -v[126:127]
	v_fma_f64 v[0:1], v[4:5], -0.5, v[0:1]
	v_add_f64 v[8:9], v[8:9], v[132:133]
	v_fma_f64 v[4:5], v[10:11], s[6:7], v[0:1]
	v_fma_f64 v[0:1], v[10:11], s[16:17], v[0:1]
	v_add_f64 v[10:11], v[112:113], -v[114:115]
	v_fma_f64 v[4:5], v[6:7], s[18:19], v[4:5]
	v_fma_f64 v[0:1], v[6:7], s[8:9], v[0:1]
	;; [unrolled: 1-line block ×4, first 2 shown]
	v_add_f64 v[0:1], v[2:3], v[112:113]
	v_add_f64 v[4:5], v[116:117], -v[126:127]
	v_add_f64 v[8:9], v[120:121], -v[124:125]
	;; [unrolled: 1-line block ×4, first 2 shown]
	v_add_f64 v[0:1], v[0:1], v[114:115]
	v_add_f64 v[10:11], v[10:11], v[116:117]
	;; [unrolled: 1-line block ×5, first 2 shown]
	v_fma_f64 v[0:1], v[0:1], -0.5, v[2:3]
	v_fma_f64 v[6:7], v[4:5], s[6:7], v[0:1]
	v_fma_f64 v[0:1], v[4:5], s[16:17], v[0:1]
	;; [unrolled: 1-line block ×6, first 2 shown]
	v_add_f64 v[0:1], v[112:113], v[122:123]
	v_add_f64 v[6:7], v[114:115], -v[112:113]
	v_add_f64 v[10:11], v[118:119], -v[122:123]
	;; [unrolled: 1-line block ×4, first 2 shown]
	v_fma_f64 v[0:1], v[0:1], -0.5, v[2:3]
	v_add_f64 v[6:7], v[6:7], v[10:11]
	v_add_f64 v[10:11], v[16:17], -v[22:23]
	v_add_f64 v[114:115], v[114:115], v[118:119]
	v_fma_f64 v[2:3], v[8:9], s[16:17], v[0:1]
	v_fma_f64 v[0:1], v[8:9], s[6:7], v[0:1]
	;; [unrolled: 1-line block ×4, first 2 shown]
	v_add_f64 v[4:5], v[24:25], v[26:27]
	v_fma_f64 v[2:3], v[6:7], s[14:15], v[2:3]
	v_fma_f64 v[112:113], v[6:7], s[14:15], v[0:1]
	v_fma_f64 v[4:5], v[4:5], -0.5, v[20:21]
	v_add_f64 v[6:7], v[14:15], -v[108:109]
	v_add_f64 v[0:1], v[20:21], v[18:19]
	v_fma_f64 v[8:9], v[6:7], s[16:17], v[4:5]
	v_fma_f64 v[4:5], v[6:7], s[6:7], v[4:5]
	v_add_f64 v[0:1], v[0:1], v[24:25]
	v_fma_f64 v[8:9], v[10:11], s[18:19], v[8:9]
	v_fma_f64 v[4:5], v[10:11], s[8:9], v[4:5]
	v_add_f64 v[0:1], v[0:1], v[26:27]
	v_fma_f64 v[118:119], v[114:115], s[14:15], v[8:9]
	v_fma_f64 v[114:115], v[114:115], s[14:15], v[4:5]
	v_add_f64 v[4:5], v[18:19], v[110:111]
	v_add_f64 v[0:1], v[0:1], v[110:111]
	v_fma_f64 v[4:5], v[4:5], -0.5, v[20:21]
	v_add_f64 v[20:21], v[24:25], -v[18:19]
	v_fma_f64 v[8:9], v[10:11], s[6:7], v[4:5]
	v_fma_f64 v[4:5], v[10:11], s[16:17], v[4:5]
	v_add_f64 v[20:21], v[20:21], v[120:121]
	v_fma_f64 v[8:9], v[6:7], s[18:19], v[8:9]
	v_fma_f64 v[4:5], v[6:7], s[8:9], v[4:5]
	;; [unrolled: 1-line block ×4, first 2 shown]
	v_add_f64 v[4:5], v[12:13], v[14:15]
	v_add_f64 v[8:9], v[18:19], -v[110:111]
	v_add_f64 v[18:19], v[24:25], -v[26:27]
	;; [unrolled: 1-line block ×4, first 2 shown]
	v_add_f64 v[4:5], v[4:5], v[16:17]
	v_add_f64 v[20:21], v[20:21], v[24:25]
	;; [unrolled: 1-line block ×5, first 2 shown]
	v_fma_f64 v[4:5], v[4:5], -0.5, v[12:13]
	v_fma_f64 v[10:11], v[8:9], s[6:7], v[4:5]
	v_fma_f64 v[4:5], v[8:9], s[16:17], v[4:5]
	;; [unrolled: 1-line block ×6, first 2 shown]
	v_add_f64 v[4:5], v[14:15], v[108:109]
	v_add_f64 v[14:15], v[16:17], -v[14:15]
	v_add_f64 v[16:17], v[22:23], -v[108:109]
	v_add_f64 v[20:21], v[130:131], v[0:1]
	v_add_f64 v[22:23], v[144:145], v[122:123]
	v_fma_f64 v[4:5], v[4:5], -0.5, v[12:13]
	v_add_f64 v[14:15], v[14:15], v[16:17]
	v_fma_f64 v[12:13], v[18:19], s[16:17], v[4:5]
	v_fma_f64 v[4:5], v[18:19], s[6:7], v[4:5]
	v_mul_f64 v[18:19], v[24:25], s[18:19]
	v_fma_f64 v[12:13], v[8:9], s[8:9], v[12:13]
	v_fma_f64 v[4:5], v[8:9], s[18:19], v[4:5]
	;; [unrolled: 1-line block ×5, first 2 shown]
	v_mul_f64 v[4:5], v[10:11], s[18:19]
	v_mul_f64 v[10:11], v[10:11], s[20:21]
	v_add_f64 v[140:141], v[136:137], v[126:127]
	v_fma_f64 v[26:27], v[118:119], s[20:21], v[4:5]
	v_mul_f64 v[4:5], v[12:13], s[16:17]
	v_fma_f64 v[118:119], v[118:119], s[8:9], v[10:11]
	v_mul_f64 v[10:11], v[12:13], s[14:15]
	v_mul_f64 v[12:13], v[14:15], s[22:23]
	v_add_f64 v[16:17], v[134:135], v[26:27]
	v_fma_f64 v[108:109], v[120:121], s[14:15], v[4:5]
	v_mul_f64 v[4:5], v[14:15], s[16:17]
	v_fma_f64 v[146:147], v[120:121], s[6:7], v[10:11]
	v_fma_f64 v[148:149], v[6:7], s[6:7], v[12:13]
	v_mul_f64 v[12:13], v[24:25], s[24:25]
	v_add_f64 v[18:19], v[116:117], v[118:119]
	v_add_f64 v[24:25], v[130:131], -v[0:1]
	v_add_f64 v[14:15], v[116:117], -v[118:119]
	;; [unrolled: 1-line block ×3, first 2 shown]
	s_mul_hi_u32 s6, s0, 0xffff9520
	s_sub_i32 s6, s6, s0
	v_add_f64 v[8:9], v[132:133], v[108:109]
	v_fma_f64 v[110:111], v[6:7], s[22:23], v[4:5]
	v_add_f64 v[10:11], v[2:3], v[146:147]
	v_add_f64 v[6:7], v[112:113], v[148:149]
	v_fma_f64 v[114:115], v[114:115], s[8:9], v[12:13]
	v_add_f64 v[12:13], v[134:135], -v[26:27]
	v_add_f64 v[0:1], v[132:133], -v[108:109]
	;; [unrolled: 1-line block ×5, first 2 shown]
	v_add_f64 v[4:5], v[138:139], v[110:111]
	v_add_f64 v[132:133], v[138:139], -v[110:111]
	v_add_f64 v[122:123], v[124:125], -v[114:115]
	v_add_f64 v[142:143], v[124:125], v[114:115]
	ds_write_b128 v181, v[44:47]
	ds_write_b128 v181, v[40:43] offset:480
	ds_write_b128 v181, v[36:39] offset:960
	ds_write_b128 v181, v[32:35] offset:1440
	ds_write_b128 v181, v[28:31] offset:1920
	ds_write_b128 v181, v[64:67] offset:2400
	ds_write_b128 v181, v[60:63] offset:2880
	ds_write_b128 v181, v[56:59] offset:3360
	ds_write_b128 v181, v[52:55] offset:3840
	ds_write_b128 v181, v[48:51] offset:4320
	ds_write_b128 v160, v[100:103]
	ds_write_b128 v160, v[96:99] offset:480
	ds_write_b128 v160, v[88:91] offset:960
	ds_write_b128 v160, v[84:87] offset:1440
	ds_write_b128 v160, v[76:79] offset:1920
	ds_write_b128 v160, v[104:107] offset:2400
	ds_write_b128 v160, v[92:95] offset:2880
	ds_write_b128 v160, v[80:83] offset:3360
	ds_write_b128 v160, v[72:75] offset:3840
	ds_write_b128 v160, v[68:71] offset:4320
	;; [unrolled: 10-line block ×3, first 2 shown]
	s_waitcnt lgkmcnt(0)
	s_barrier
	buffer_gl0_inv
	ds_read_b128 v[36:39], v128
	ds_read_b128 v[40:43], v128 offset:14400
	ds_read_b128 v[44:47], v128 offset:28800
	;; [unrolled: 1-line block ×29, first 2 shown]
	s_clause 0x7
	buffer_load_dword v122, off, s[28:31], 0 offset:1132
	buffer_load_dword v123, off, s[28:31], 0 offset:1136
	;; [unrolled: 1-line block ×8, first 2 shown]
	s_waitcnt vmcnt(4) lgkmcnt(28)
	v_mul_f64 v[120:121], v[124:125], v[42:43]
	v_fma_f64 v[120:121], v[122:123], v[40:41], v[120:121]
	v_mul_f64 v[40:41], v[124:125], v[40:41]
	v_fma_f64 v[122:123], v[122:123], v[42:43], -v[40:41]
	s_waitcnt vmcnt(0) lgkmcnt(27)
	v_mul_f64 v[40:41], v[132:133], v[46:47]
	v_fma_f64 v[124:125], v[130:131], v[44:45], v[40:41]
	v_mul_f64 v[40:41], v[132:133], v[44:45]
	s_clause 0x3
	buffer_load_dword v42, off, s[28:31], 0 offset:1228
	buffer_load_dword v43, off, s[28:31], 0 offset:1232
	;; [unrolled: 1-line block ×4, first 2 shown]
	v_fma_f64 v[46:47], v[130:131], v[46:47], -v[40:41]
	s_waitcnt vmcnt(0) lgkmcnt(25)
	v_mul_f64 v[40:41], v[44:45], v[50:51]
	v_fma_f64 v[126:127], v[42:43], v[48:49], v[40:41]
	v_mul_f64 v[40:41], v[44:45], v[48:49]
	v_fma_f64 v[48:49], v[42:43], v[50:51], -v[40:41]
	s_clause 0x3
	buffer_load_dword v42, off, s[28:31], 0 offset:1244
	buffer_load_dword v43, off, s[28:31], 0 offset:1248
	buffer_load_dword v44, off, s[28:31], 0 offset:1252
	buffer_load_dword v45, off, s[28:31], 0 offset:1256
	s_waitcnt vmcnt(0) lgkmcnt(24)
	v_mul_f64 v[40:41], v[44:45], v[54:55]
	v_fma_f64 v[50:51], v[42:43], v[52:53], v[40:41]
	v_mul_f64 v[40:41], v[44:45], v[52:53]
	v_fma_f64 v[52:53], v[42:43], v[54:55], -v[40:41]
	s_clause 0x3
	buffer_load_dword v42, off, s[28:31], 0 offset:1276
	buffer_load_dword v43, off, s[28:31], 0 offset:1280
	buffer_load_dword v44, off, s[28:31], 0 offset:1284
	buffer_load_dword v45, off, s[28:31], 0 offset:1288
	;; [unrolled: 10-line block ×11, first 2 shown]
	s_waitcnt vmcnt(0) lgkmcnt(0)
	s_barrier
	buffer_gl0_inv
	v_mul_f64 v[40:41], v[44:45], v[94:95]
	v_fma_f64 v[146:147], v[42:43], v[92:93], v[40:41]
	v_mul_f64 v[40:41], v[44:45], v[92:93]
	v_fma_f64 v[148:149], v[42:43], v[94:95], -v[40:41]
	v_mul_f64 v[40:41], v[238:239], v[98:99]
	v_add_f64 v[42:43], v[120:121], v[124:125]
	v_fma_f64 v[150:151], v[236:237], v[96:97], v[40:41]
	v_mul_f64 v[40:41], v[238:239], v[96:97]
	v_fma_f64 v[160:161], v[236:237], v[98:99], -v[40:41]
	v_mul_f64 v[40:41], v[250:251], v[102:103]
	v_fma_f64 v[162:163], v[248:249], v[100:101], v[40:41]
	v_mul_f64 v[40:41], v[250:251], v[100:101]
	v_fma_f64 v[181:182], v[248:249], v[102:103], -v[40:41]
	v_mul_f64 v[40:41], v[214:215], v[106:107]
	v_fma_f64 v[183:184], v[212:213], v[104:105], v[40:41]
	v_mul_f64 v[40:41], v[214:215], v[104:105]
	v_fma_f64 v[187:188], v[212:213], v[106:107], -v[40:41]
	v_mul_f64 v[40:41], v[222:223], v[110:111]
	v_fma_f64 v[189:190], v[220:221], v[108:109], v[40:41]
	v_mul_f64 v[40:41], v[222:223], v[108:109]
	v_fma_f64 v[212:213], v[220:221], v[110:111], -v[40:41]
	v_mul_f64 v[40:41], v[194:195], v[114:115]
	v_fma_f64 v[214:215], v[192:193], v[112:113], v[40:41]
	v_mul_f64 v[40:41], v[194:195], v[112:113]
	v_fma_f64 v[191:192], v[192:193], v[114:115], -v[40:41]
	v_mul_f64 v[40:41], v[198:199], v[118:119]
	v_fma_f64 v[193:194], v[196:197], v[116:117], v[40:41]
	v_mul_f64 v[40:41], v[198:199], v[116:117]
	v_fma_f64 v[195:196], v[196:197], v[118:119], -v[40:41]
	v_add_f64 v[40:41], v[36:37], v[120:121]
	v_fma_f64 v[36:37], v[42:43], -0.5, v[36:37]
	v_add_f64 v[42:43], v[122:123], -v[46:47]
	v_add_f64 v[40:41], v[40:41], v[124:125]
	v_fma_f64 v[60:61], v[42:43], s[2:3], v[36:37]
	v_fma_f64 v[44:45], v[42:43], s[4:5], v[36:37]
	v_add_f64 v[36:37], v[38:39], v[122:123]
	v_add_f64 v[42:43], v[36:37], v[46:47]
	v_add_f64 v[36:37], v[122:123], v[46:47]
	v_fma_f64 v[36:37], v[36:37], -0.5, v[38:39]
	v_add_f64 v[38:39], v[120:121], -v[124:125]
	v_fma_f64 v[62:63], v[38:39], s[4:5], v[36:37]
	v_fma_f64 v[46:47], v[38:39], s[2:3], v[36:37]
	v_add_f64 v[36:37], v[32:33], v[126:127]
	v_add_f64 v[88:89], v[36:37], v[50:51]
	v_add_f64 v[36:37], v[126:127], v[50:51]
	v_fma_f64 v[32:33], v[36:37], -0.5, v[32:33]
	v_add_f64 v[36:37], v[48:49], -v[52:53]
	;; [unrolled: 7-line block ×13, first 2 shown]
	v_fma_f64 v[66:67], v[14:15], s[4:5], v[12:13]
	v_fma_f64 v[50:51], v[14:15], s[2:3], v[12:13]
	v_add_f64 v[12:13], v[4:5], v[150:151]
	ds_write_b128 v128, v[40:43]
	ds_write_b128 v128, v[60:63] offset:4800
	ds_write_b128 v128, v[44:47] offset:9600
	;; [unrolled: 1-line block ×8, first 2 shown]
	ds_write_b128 v129, v[112:115]
	ds_write_b128 v129, v[120:123] offset:4800
	ds_write_b128 v129, v[116:119] offset:9600
	;; [unrolled: 1-line block ×8, first 2 shown]
	ds_write_b128 v186, v[68:71]
	ds_write_b128 v186, v[64:67] offset:4800
	ds_write_b128 v186, v[48:51] offset:9600
	v_add_f64 v[36:37], v[12:13], v[162:163]
	v_add_f64 v[12:13], v[150:151], v[162:163]
	v_fma_f64 v[4:5], v[12:13], -0.5, v[4:5]
	v_add_f64 v[12:13], v[160:161], -v[181:182]
	v_fma_f64 v[32:33], v[12:13], s[2:3], v[4:5]
	v_fma_f64 v[28:29], v[12:13], s[4:5], v[4:5]
	v_add_f64 v[4:5], v[6:7], v[160:161]
	v_add_f64 v[38:39], v[4:5], v[181:182]
	v_add_f64 v[4:5], v[160:161], v[181:182]
	v_fma_f64 v[4:5], v[4:5], -0.5, v[6:7]
	v_add_f64 v[6:7], v[150:151], -v[162:163]
	v_fma_f64 v[34:35], v[6:7], s[4:5], v[4:5]
	v_fma_f64 v[30:31], v[6:7], s[2:3], v[4:5]
	v_add_f64 v[4:5], v[0:1], v[183:184]
	;; [unrolled: 7-line block ×4, first 2 shown]
	v_add_f64 v[2:3], v[191:192], -v[195:196]
	v_add_f64 v[12:13], v[0:1], v[193:194]
	v_add_f64 v[0:1], v[214:215], v[193:194]
	v_fma_f64 v[0:1], v[0:1], -0.5, v[8:9]
	v_add_f64 v[8:9], v[214:215], -v[193:194]
	v_fma_f64 v[4:5], v[2:3], s[2:3], v[0:1]
	v_fma_f64 v[0:1], v[2:3], s[4:5], v[0:1]
	v_add_f64 v[2:3], v[10:11], v[191:192]
	v_add_f64 v[14:15], v[2:3], v[195:196]
	;; [unrolled: 1-line block ×3, first 2 shown]
	v_fma_f64 v[2:3], v[2:3], -0.5, v[10:11]
	v_fma_f64 v[6:7], v[8:9], s[4:5], v[2:3]
	v_fma_f64 v[2:3], v[8:9], s[2:3], v[2:3]
	buffer_load_dword v8, off, s[28:31], 0 offset:1524 ; 4-byte Folded Reload
	s_waitcnt vmcnt(0)
	ds_write_b128 v8, v[36:39] offset:28800
	ds_write_b128 v8, v[32:35] offset:33600
	ds_write_b128 v8, v[28:31] offset:38400
	buffer_load_dword v8, off, s[28:31], 0 offset:1520 ; 4-byte Folded Reload
	s_waitcnt vmcnt(0)
	ds_write_b128 v8, v[24:27] offset:28800
	ds_write_b128 v8, v[20:23] offset:33600
	ds_write_b128 v8, v[16:19] offset:38400
	;; [unrolled: 5-line block ×3, first 2 shown]
	s_waitcnt lgkmcnt(0)
	s_barrier
	buffer_gl0_inv
	ds_read_b128 v[32:35], v128
	ds_read_b128 v[68:71], v128 offset:14400
	ds_read_b128 v[72:75], v128 offset:28800
	;; [unrolled: 1-line block ×29, first 2 shown]
	s_clause 0x3
	buffer_load_dword v122, off, s[28:31], 0 offset:1576
	buffer_load_dword v123, off, s[28:31], 0 offset:1580
	buffer_load_dword v124, off, s[28:31], 0 offset:1584
	buffer_load_dword v125, off, s[28:31], 0 offset:1588
	s_waitcnt vmcnt(0) lgkmcnt(28)
	v_mul_f64 v[120:121], v[124:125], v[70:71]
	v_fma_f64 v[126:127], v[122:123], v[68:69], v[120:121]
	v_mul_f64 v[68:69], v[124:125], v[68:69]
	v_fma_f64 v[68:69], v[122:123], v[70:71], -v[68:69]
	s_clause 0x3
	buffer_load_dword v120, off, s[28:31], 0 offset:1560
	buffer_load_dword v121, off, s[28:31], 0 offset:1564
	buffer_load_dword v122, off, s[28:31], 0 offset:1568
	buffer_load_dword v123, off, s[28:31], 0 offset:1572
	s_waitcnt vmcnt(0) lgkmcnt(27)
	v_mul_f64 v[70:71], v[122:123], v[74:75]
	v_fma_f64 v[70:71], v[120:121], v[72:73], v[70:71]
	v_mul_f64 v[72:73], v[122:123], v[72:73]
	v_fma_f64 v[72:73], v[120:121], v[74:75], -v[72:73]
	s_clause 0x3
	buffer_load_dword v120, off, s[28:31], 0 offset:1640
	buffer_load_dword v121, off, s[28:31], 0 offset:1644
	buffer_load_dword v122, off, s[28:31], 0 offset:1648
	buffer_load_dword v123, off, s[28:31], 0 offset:1652
	s_waitcnt vmcnt(0) lgkmcnt(25)
	v_mul_f64 v[74:75], v[122:123], v[78:79]
	v_fma_f64 v[74:75], v[120:121], v[76:77], v[74:75]
	v_mul_f64 v[76:77], v[122:123], v[76:77]
	v_fma_f64 v[76:77], v[120:121], v[78:79], -v[76:77]
	s_clause 0x3
	buffer_load_dword v120, off, s[28:31], 0 offset:1624
	buffer_load_dword v121, off, s[28:31], 0 offset:1628
	buffer_load_dword v122, off, s[28:31], 0 offset:1632
	buffer_load_dword v123, off, s[28:31], 0 offset:1636
	s_waitcnt vmcnt(0) lgkmcnt(24)
	v_mul_f64 v[78:79], v[122:123], v[82:83]
	v_fma_f64 v[129:130], v[120:121], v[80:81], v[78:79]
	v_mul_f64 v[78:79], v[122:123], v[80:81]
	v_fma_f64 v[131:132], v[120:121], v[82:83], -v[78:79]
	s_clause 0x3
	buffer_load_dword v80, off, s[28:31], 0 offset:1672
	buffer_load_dword v81, off, s[28:31], 0 offset:1676
	;; [unrolled: 1-line block ×4, first 2 shown]
	s_waitcnt vmcnt(0) lgkmcnt(22)
	v_mul_f64 v[78:79], v[82:83], v[86:87]
	v_fma_f64 v[133:134], v[80:81], v[84:85], v[78:79]
	v_mul_f64 v[78:79], v[82:83], v[84:85]
	s_waitcnt lgkmcnt(15)
	v_mul_f64 v[84:85], v[230:231], v[104:105]
	v_fma_f64 v[135:136], v[80:81], v[86:87], -v[78:79]
	s_clause 0x3
	buffer_load_dword v80, off, s[28:31], 0 offset:1656
	buffer_load_dword v81, off, s[28:31], 0 offset:1660
	;; [unrolled: 1-line block ×4, first 2 shown]
	s_waitcnt lgkmcnt(13)
	v_mul_f64 v[86:87], v[210:211], v[110:111]
	v_fma_f64 v[84:85], v[228:229], v[106:107], -v[84:85]
	v_fma_f64 v[86:87], v[208:209], v[108:109], v[86:87]
	s_waitcnt vmcnt(0)
	v_mul_f64 v[78:79], v[82:83], v[90:91]
	v_fma_f64 v[137:138], v[80:81], v[88:89], v[78:79]
	v_mul_f64 v[78:79], v[82:83], v[88:89]
	v_mul_f64 v[88:89], v[210:211], v[108:109]
	v_fma_f64 v[139:140], v[80:81], v[90:91], -v[78:79]
	v_fma_f64 v[120:121], v[208:209], v[110:111], -v[88:89]
	s_waitcnt lgkmcnt(12)
	v_mul_f64 v[88:89], v[218:219], v[114:115]
	v_mul_f64 v[80:81], v[226:227], v[100:101]
	v_mul_f64 v[78:79], v[234:235], v[94:95]
	v_fma_f64 v[122:123], v[216:217], v[112:113], v[88:89]
	v_mul_f64 v[88:89], v[218:219], v[112:113]
	v_fma_f64 v[82:83], v[224:225], v[102:103], -v[80:81]
	v_mul_f64 v[80:81], v[230:231], v[106:107]
	v_fma_f64 v[141:142], v[232:233], v[92:93], v[78:79]
	v_mul_f64 v[78:79], v[234:235], v[92:93]
	v_fma_f64 v[124:125], v[216:217], v[114:115], -v[88:89]
	s_waitcnt lgkmcnt(10)
	v_mul_f64 v[88:89], v[202:203], v[118:119]
	v_fma_f64 v[80:81], v[228:229], v[104:105], v[80:81]
	v_fma_f64 v[143:144], v[232:233], v[94:95], -v[78:79]
	v_mul_f64 v[78:79], v[242:243], v[98:99]
	v_fma_f64 v[112:113], v[200:201], v[116:117], v[88:89]
	v_mul_f64 v[88:89], v[202:203], v[116:117]
	v_fma_f64 v[145:146], v[240:241], v[96:97], v[78:79]
	v_mul_f64 v[78:79], v[242:243], v[96:97]
	v_fma_f64 v[116:117], v[200:201], v[118:119], -v[88:89]
	s_waitcnt lgkmcnt(9)
	v_mul_f64 v[88:89], v[206:207], v[66:67]
	v_fma_f64 v[147:148], v[240:241], v[98:99], -v[78:79]
	v_mul_f64 v[78:79], v[226:227], v[102:103]
	v_fma_f64 v[114:115], v[204:205], v[64:65], v[88:89]
	v_mul_f64 v[64:65], v[206:207], v[64:65]
	v_fma_f64 v[78:79], v[224:225], v[100:101], v[78:79]
	v_fma_f64 v[118:119], v[204:205], v[66:67], -v[64:65]
	s_waitcnt lgkmcnt(7)
	v_mul_f64 v[64:65], v[175:176], v[62:63]
	v_add_f64 v[66:67], v[141:142], v[145:146]
	v_fma_f64 v[104:105], v[173:174], v[60:61], v[64:65]
	v_mul_f64 v[60:61], v[175:176], v[60:61]
	v_add_f64 v[64:65], v[133:134], -v[137:138]
	v_fma_f64 v[108:109], v[173:174], v[62:63], -v[60:61]
	s_waitcnt lgkmcnt(6)
	v_mul_f64 v[60:61], v[179:180], v[58:59]
	v_add_f64 v[62:63], v[135:136], v[139:140]
	v_fma_f64 v[106:107], v[177:178], v[56:57], v[60:61]
	v_mul_f64 v[56:57], v[179:180], v[56:57]
	v_fma_f64 v[110:111], v[177:178], v[58:59], -v[56:57]
	s_waitcnt lgkmcnt(4)
	v_mul_f64 v[56:57], v[167:168], v[38:39]
	v_add_f64 v[58:59], v[133:134], v[137:138]
	v_fma_f64 v[96:97], v[165:166], v[36:37], v[56:57]
	v_mul_f64 v[36:37], v[167:168], v[36:37]
	v_add_f64 v[56:57], v[74:75], -v[129:130]
	v_fma_f64 v[100:101], v[165:166], v[38:39], -v[36:37]
	s_waitcnt lgkmcnt(3)
	v_mul_f64 v[36:37], v[171:172], v[26:27]
	v_add_f64 v[38:39], v[68:69], v[72:73]
	v_fma_f64 v[98:99], v[169:170], v[24:25], v[36:37]
	v_mul_f64 v[24:25], v[171:172], v[24:25]
	v_fma_f64 v[102:103], v[169:170], v[26:27], -v[24:25]
	s_waitcnt lgkmcnt(1)
	v_mul_f64 v[24:25], v[154:155], v[54:55]
	v_add_f64 v[26:27], v[126:127], v[70:71]
	v_fma_f64 v[88:89], v[152:153], v[52:53], v[24:25]
	v_mul_f64 v[24:25], v[154:155], v[52:53]
	v_fma_f64 v[26:27], v[26:27], -0.5, v[32:33]
	v_fma_f64 v[92:93], v[152:153], v[54:55], -v[24:25]
	s_waitcnt lgkmcnt(0)
	v_mul_f64 v[24:25], v[158:159], v[42:43]
	v_add_f64 v[54:55], v[76:77], v[131:132]
	v_fma_f64 v[90:91], v[156:157], v[40:41], v[24:25]
	v_mul_f64 v[24:25], v[158:159], v[40:41]
	v_add_f64 v[40:41], v[126:127], -v[70:71]
	v_fma_f64 v[94:95], v[156:157], v[42:43], -v[24:25]
	v_add_f64 v[24:25], v[32:33], v[126:127]
	v_add_f64 v[32:33], v[68:69], -v[72:73]
	v_add_f64 v[42:43], v[74:75], v[129:130]
	v_add_f64 v[24:25], v[24:25], v[70:71]
	v_fma_f64 v[36:37], v[32:33], s[2:3], v[26:27]
	v_fma_f64 v[32:33], v[32:33], s[4:5], v[26:27]
	v_add_f64 v[26:27], v[34:35], v[68:69]
	v_fma_f64 v[34:35], v[38:39], -0.5, v[34:35]
	v_fma_f64 v[42:43], v[42:43], -0.5, v[48:49]
	v_add_f64 v[70:71], v[143:144], v[147:148]
	v_add_f64 v[26:27], v[26:27], v[72:73]
	v_fma_f64 v[38:39], v[40:41], s[4:5], v[34:35]
	v_fma_f64 v[34:35], v[40:41], s[2:3], v[34:35]
	v_add_f64 v[40:41], v[48:49], v[74:75]
	v_add_f64 v[48:49], v[76:77], -v[131:132]
	v_add_f64 v[72:73], v[141:142], -v[145:146]
	v_add_f64 v[74:75], v[78:79], v[80:81]
	v_add_f64 v[40:41], v[40:41], v[129:130]
	v_fma_f64 v[52:53], v[48:49], s[2:3], v[42:43]
	v_fma_f64 v[48:49], v[48:49], s[4:5], v[42:43]
	v_add_f64 v[42:43], v[50:51], v[76:77]
	v_fma_f64 v[50:51], v[54:55], -0.5, v[50:51]
	v_add_f64 v[42:43], v[42:43], v[131:132]
	v_fma_f64 v[54:55], v[56:57], s[4:5], v[50:51]
	v_fma_f64 v[50:51], v[56:57], s[2:3], v[50:51]
	v_add_f64 v[56:57], v[44:45], v[133:134]
	v_fma_f64 v[44:45], v[58:59], -0.5, v[44:45]
	v_add_f64 v[58:59], v[135:136], -v[139:140]
	v_add_f64 v[56:57], v[56:57], v[137:138]
	v_fma_f64 v[60:61], v[58:59], s[2:3], v[44:45]
	v_fma_f64 v[44:45], v[58:59], s[4:5], v[44:45]
	v_add_f64 v[58:59], v[46:47], v[135:136]
	v_fma_f64 v[46:47], v[62:63], -0.5, v[46:47]
	v_add_f64 v[58:59], v[58:59], v[139:140]
	v_fma_f64 v[62:63], v[64:65], s[4:5], v[46:47]
	v_fma_f64 v[46:47], v[64:65], s[2:3], v[46:47]
	v_add_f64 v[64:65], v[28:29], v[141:142]
	v_fma_f64 v[28:29], v[66:67], -0.5, v[28:29]
	v_add_f64 v[66:67], v[143:144], -v[147:148]
	;; [unrolled: 11-line block ×3, first 2 shown]
	v_add_f64 v[72:73], v[72:73], v[80:81]
	v_add_f64 v[80:81], v[78:79], -v[80:81]
	v_fma_f64 v[76:77], v[74:75], s[2:3], v[20:21]
	v_fma_f64 v[20:21], v[74:75], s[4:5], v[20:21]
	v_add_f64 v[74:75], v[22:23], v[82:83]
	v_add_f64 v[82:83], v[82:83], v[84:85]
	;; [unrolled: 1-line block ×3, first 2 shown]
	v_fma_f64 v[22:23], v[82:83], -0.5, v[22:23]
	v_add_f64 v[82:83], v[86:87], v[122:123]
	v_fma_f64 v[78:79], v[80:81], s[4:5], v[22:23]
	v_fma_f64 v[22:23], v[80:81], s[2:3], v[22:23]
	v_add_f64 v[80:81], v[16:17], v[86:87]
	v_fma_f64 v[16:17], v[82:83], -0.5, v[16:17]
	v_add_f64 v[82:83], v[120:121], -v[124:125]
	v_add_f64 v[80:81], v[80:81], v[122:123]
	v_fma_f64 v[84:85], v[82:83], s[2:3], v[16:17]
	v_fma_f64 v[16:17], v[82:83], s[4:5], v[16:17]
	v_add_f64 v[82:83], v[18:19], v[120:121]
	v_add_f64 v[120:121], v[120:121], v[124:125]
	;; [unrolled: 1-line block ×3, first 2 shown]
	v_fma_f64 v[18:19], v[120:121], -0.5, v[18:19]
	v_add_f64 v[120:121], v[86:87], -v[122:123]
	v_add_f64 v[122:123], v[112:113], v[114:115]
	v_add_f64 v[124:125], v[116:117], -v[118:119]
	v_fma_f64 v[86:87], v[120:121], s[4:5], v[18:19]
	v_fma_f64 v[122:123], v[122:123], -0.5, v[12:13]
	v_fma_f64 v[18:19], v[120:121], s[2:3], v[18:19]
	v_add_f64 v[120:121], v[12:13], v[112:113]
	v_add_f64 v[112:113], v[112:113], -v[114:115]
	v_fma_f64 v[12:13], v[124:125], s[2:3], v[122:123]
	v_fma_f64 v[124:125], v[124:125], s[4:5], v[122:123]
	v_add_f64 v[122:123], v[14:15], v[116:117]
	v_add_f64 v[116:117], v[116:117], v[118:119]
	v_add_f64 v[120:121], v[120:121], v[114:115]
	v_add_f64 v[114:115], v[104:105], v[106:107]
	v_add_f64 v[122:123], v[122:123], v[118:119]
	v_fma_f64 v[116:117], v[116:117], -0.5, v[14:15]
	v_fma_f64 v[114:115], v[114:115], -0.5, v[8:9]
	v_fma_f64 v[14:15], v[112:113], s[4:5], v[116:117]
	v_fma_f64 v[126:127], v[112:113], s[2:3], v[116:117]
	v_add_f64 v[116:117], v[108:109], -v[110:111]
	v_add_f64 v[112:113], v[8:9], v[104:105]
	v_add_f64 v[104:105], v[104:105], -v[106:107]
	v_fma_f64 v[8:9], v[116:117], s[2:3], v[114:115]
	v_fma_f64 v[116:117], v[116:117], s[4:5], v[114:115]
	v_add_f64 v[114:115], v[10:11], v[108:109]
	v_add_f64 v[108:109], v[108:109], v[110:111]
	v_add_f64 v[112:113], v[112:113], v[106:107]
	v_add_f64 v[106:107], v[96:97], v[98:99]
	v_add_f64 v[114:115], v[114:115], v[110:111]
	v_fma_f64 v[108:109], v[108:109], -0.5, v[10:11]
	v_fma_f64 v[106:107], v[106:107], -0.5, v[4:5]
	v_fma_f64 v[10:11], v[104:105], s[4:5], v[108:109]
	v_fma_f64 v[118:119], v[104:105], s[2:3], v[108:109]
	v_add_f64 v[108:109], v[100:101], -v[102:103]
	;; [unrolled: 14-line block ×3, first 2 shown]
	v_add_f64 v[96:97], v[0:1], v[88:89]
	v_add_f64 v[88:89], v[88:89], -v[90:91]
	v_fma_f64 v[0:1], v[100:101], s[2:3], v[98:99]
	v_fma_f64 v[100:101], v[100:101], s[4:5], v[98:99]
	v_add_f64 v[98:99], v[2:3], v[92:93]
	v_add_f64 v[92:93], v[92:93], v[94:95]
	;; [unrolled: 1-line block ×4, first 2 shown]
	v_fma_f64 v[92:93], v[92:93], -0.5, v[2:3]
	v_fma_f64 v[2:3], v[88:89], s[4:5], v[92:93]
	v_fma_f64 v[102:103], v[88:89], s[2:3], v[92:93]
	ds_write_b128 v128, v[24:27]
	ds_write_b128 v128, v[36:39] offset:14400
	ds_write_b128 v128, v[32:35] offset:28800
	;; [unrolled: 1-line block ×29, first 2 shown]
	s_waitcnt lgkmcnt(0)
	s_barrier
	buffer_gl0_inv
	ds_read_b128 v[0:3], v128
	s_clause 0x3
	buffer_load_dword v6, off, s[28:31], 0 offset:40
	buffer_load_dword v7, off, s[28:31], 0 offset:44
	;; [unrolled: 1-line block ×4, first 2 shown]
	s_mov_b32 s2, 0xa0ce5129
	s_mov_b32 s3, 0x3f3845c8
	s_mul_i32 s4, s1, 0x3840
	s_mul_hi_u32 s5, s0, 0x3840
	s_add_i32 s4, s5, s4
	s_mul_i32 s5, s0, 0x3840
	s_waitcnt vmcnt(0) lgkmcnt(0)
	v_mul_f64 v[4:5], v[8:9], v[2:3]
	v_fma_f64 v[4:5], v[6:7], v[0:1], v[4:5]
	v_mul_f64 v[0:1], v[8:9], v[0:1]
	v_mul_f64 v[4:5], v[4:5], s[2:3]
	v_fma_f64 v[0:1], v[6:7], v[2:3], -v[0:1]
	v_mul_f64 v[6:7], v[0:1], s[2:3]
	v_mad_u64_u32 v[0:1], null, s0, v185, 0
	s_mulk_i32 s0, 0x9520
	v_mad_u64_u32 v[1:2], null, s1, v185, v[1:2]
	s_clause 0x1
	buffer_load_dword v2, off, s[28:31], 0
	buffer_load_dword v3, off, s[28:31], 0 offset:4
	s_mulk_i32 s1, 0x9520
	s_add_i32 s1, s6, s1
	v_lshlrev_b64 v[0:1], 4, v[0:1]
	s_waitcnt vmcnt(0)
	v_lshlrev_b64 v[2:3], 4, v[2:3]
	v_add_co_u32 v2, vcc_lo, s12, v2
	v_add_co_ci_u32_e32 v3, vcc_lo, s13, v3, vcc_lo
	v_add_co_u32 v8, vcc_lo, v2, v0
	v_add_co_ci_u32_e32 v9, vcc_lo, v3, v1, vcc_lo
	ds_read_b128 v[0:3], v128 offset:14400
	global_store_dwordx4 v[8:9], v[4:7], off
	s_clause 0x3
	buffer_load_dword v10, off, s[28:31], 0 offset:24
	buffer_load_dword v11, off, s[28:31], 0 offset:28
	buffer_load_dword v12, off, s[28:31], 0 offset:32
	buffer_load_dword v13, off, s[28:31], 0 offset:36
	v_add_co_u32 v8, vcc_lo, v8, s5
	v_add_co_ci_u32_e32 v9, vcc_lo, s4, v9, vcc_lo
	s_waitcnt vmcnt(0) lgkmcnt(0)
	v_mul_f64 v[4:5], v[12:13], v[2:3]
	v_fma_f64 v[4:5], v[10:11], v[0:1], v[4:5]
	v_mul_f64 v[0:1], v[12:13], v[0:1]
	v_mul_f64 v[4:5], v[4:5], s[2:3]
	v_fma_f64 v[0:1], v[10:11], v[2:3], -v[0:1]
	v_mul_f64 v[6:7], v[0:1], s[2:3]
	ds_read_b128 v[0:3], v128 offset:28800
	global_store_dwordx4 v[8:9], v[4:7], off
	s_clause 0x3
	buffer_load_dword v10, off, s[28:31], 0 offset:8
	buffer_load_dword v11, off, s[28:31], 0 offset:12
	buffer_load_dword v12, off, s[28:31], 0 offset:16
	buffer_load_dword v13, off, s[28:31], 0 offset:20
	v_add_co_u32 v8, vcc_lo, v8, s5
	v_add_co_ci_u32_e32 v9, vcc_lo, s4, v9, vcc_lo
	s_waitcnt vmcnt(0) lgkmcnt(0)
	v_mul_f64 v[4:5], v[12:13], v[2:3]
	v_fma_f64 v[4:5], v[10:11], v[0:1], v[4:5]
	v_mul_f64 v[0:1], v[12:13], v[0:1]
	v_mul_f64 v[4:5], v[4:5], s[2:3]
	v_fma_f64 v[0:1], v[10:11], v[2:3], -v[0:1]
	v_mul_f64 v[6:7], v[0:1], s[2:3]
	ds_read_b128 v[0:3], v128 offset:1440
	global_store_dwordx4 v[8:9], v[4:7], off
	s_clause 0x3
	buffer_load_dword v10, off, s[28:31], 0 offset:104
	buffer_load_dword v11, off, s[28:31], 0 offset:108
	buffer_load_dword v12, off, s[28:31], 0 offset:112
	buffer_load_dword v13, off, s[28:31], 0 offset:116
	v_add_co_u32 v8, vcc_lo, v8, s0
	v_add_co_ci_u32_e32 v9, vcc_lo, s1, v9, vcc_lo
	s_waitcnt vmcnt(0) lgkmcnt(0)
	v_mul_f64 v[4:5], v[12:13], v[2:3]
	v_fma_f64 v[4:5], v[10:11], v[0:1], v[4:5]
	v_mul_f64 v[0:1], v[12:13], v[0:1]
	v_mul_f64 v[4:5], v[4:5], s[2:3]
	v_fma_f64 v[0:1], v[10:11], v[2:3], -v[0:1]
	v_mul_f64 v[6:7], v[0:1], s[2:3]
	ds_read_b128 v[0:3], v128 offset:15840
	global_store_dwordx4 v[8:9], v[4:7], off
	s_clause 0x3
	buffer_load_dword v10, off, s[28:31], 0 offset:88
	buffer_load_dword v11, off, s[28:31], 0 offset:92
	buffer_load_dword v12, off, s[28:31], 0 offset:96
	buffer_load_dword v13, off, s[28:31], 0 offset:100
	v_add_co_u32 v8, vcc_lo, v8, s5
	v_add_co_ci_u32_e32 v9, vcc_lo, s4, v9, vcc_lo
	s_waitcnt vmcnt(0) lgkmcnt(0)
	v_mul_f64 v[4:5], v[12:13], v[2:3]
	v_fma_f64 v[4:5], v[10:11], v[0:1], v[4:5]
	v_mul_f64 v[0:1], v[12:13], v[0:1]
	v_mul_f64 v[4:5], v[4:5], s[2:3]
	v_fma_f64 v[0:1], v[10:11], v[2:3], -v[0:1]
	v_mul_f64 v[6:7], v[0:1], s[2:3]
	ds_read_b128 v[0:3], v128 offset:30240
	global_store_dwordx4 v[8:9], v[4:7], off
	s_clause 0x3
	buffer_load_dword v10, off, s[28:31], 0 offset:72
	buffer_load_dword v11, off, s[28:31], 0 offset:76
	buffer_load_dword v12, off, s[28:31], 0 offset:80
	buffer_load_dword v13, off, s[28:31], 0 offset:84
	v_add_co_u32 v8, vcc_lo, v8, s5
	v_add_co_ci_u32_e32 v9, vcc_lo, s4, v9, vcc_lo
	s_waitcnt vmcnt(0) lgkmcnt(0)
	v_mul_f64 v[4:5], v[12:13], v[2:3]
	v_fma_f64 v[4:5], v[10:11], v[0:1], v[4:5]
	v_mul_f64 v[0:1], v[12:13], v[0:1]
	v_mul_f64 v[4:5], v[4:5], s[2:3]
	v_fma_f64 v[0:1], v[10:11], v[2:3], -v[0:1]
	v_mul_f64 v[6:7], v[0:1], s[2:3]
	ds_read_b128 v[0:3], v128 offset:2880
	global_store_dwordx4 v[8:9], v[4:7], off
	s_clause 0x3
	buffer_load_dword v10, off, s[28:31], 0 offset:120
	buffer_load_dword v11, off, s[28:31], 0 offset:124
	buffer_load_dword v12, off, s[28:31], 0 offset:128
	buffer_load_dword v13, off, s[28:31], 0 offset:132
	v_add_co_u32 v8, vcc_lo, v8, s0
	v_add_co_ci_u32_e32 v9, vcc_lo, s1, v9, vcc_lo
	s_waitcnt vmcnt(0) lgkmcnt(0)
	v_mul_f64 v[4:5], v[12:13], v[2:3]
	v_fma_f64 v[4:5], v[10:11], v[0:1], v[4:5]
	v_mul_f64 v[0:1], v[12:13], v[0:1]
	v_mul_f64 v[4:5], v[4:5], s[2:3]
	v_fma_f64 v[0:1], v[10:11], v[2:3], -v[0:1]
	v_mul_f64 v[6:7], v[0:1], s[2:3]
	ds_read_b128 v[0:3], v128 offset:17280
	global_store_dwordx4 v[8:9], v[4:7], off
	s_clause 0x3
	buffer_load_dword v10, off, s[28:31], 0 offset:136
	buffer_load_dword v11, off, s[28:31], 0 offset:140
	buffer_load_dword v12, off, s[28:31], 0 offset:144
	buffer_load_dword v13, off, s[28:31], 0 offset:148
	v_add_co_u32 v8, vcc_lo, v8, s5
	v_add_co_ci_u32_e32 v9, vcc_lo, s4, v9, vcc_lo
	s_waitcnt vmcnt(0) lgkmcnt(0)
	v_mul_f64 v[4:5], v[12:13], v[2:3]
	v_fma_f64 v[4:5], v[10:11], v[0:1], v[4:5]
	v_mul_f64 v[0:1], v[12:13], v[0:1]
	v_mul_f64 v[4:5], v[4:5], s[2:3]
	v_fma_f64 v[0:1], v[10:11], v[2:3], -v[0:1]
	v_mul_f64 v[6:7], v[0:1], s[2:3]
	ds_read_b128 v[0:3], v128 offset:31680
	global_store_dwordx4 v[8:9], v[4:7], off
	s_clause 0x3
	buffer_load_dword v10, off, s[28:31], 0 offset:152
	buffer_load_dword v11, off, s[28:31], 0 offset:156
	buffer_load_dword v12, off, s[28:31], 0 offset:160
	buffer_load_dword v13, off, s[28:31], 0 offset:164
	v_add_co_u32 v8, vcc_lo, v8, s5
	v_add_co_ci_u32_e32 v9, vcc_lo, s4, v9, vcc_lo
	s_waitcnt vmcnt(0) lgkmcnt(0)
	v_mul_f64 v[4:5], v[12:13], v[2:3]
	v_fma_f64 v[4:5], v[10:11], v[0:1], v[4:5]
	v_mul_f64 v[0:1], v[12:13], v[0:1]
	v_mul_f64 v[4:5], v[4:5], s[2:3]
	v_fma_f64 v[0:1], v[10:11], v[2:3], -v[0:1]
	v_mul_f64 v[6:7], v[0:1], s[2:3]
	ds_read_b128 v[0:3], v128 offset:4320
	global_store_dwordx4 v[8:9], v[4:7], off
	s_clause 0x3
	buffer_load_dword v10, off, s[28:31], 0 offset:168
	buffer_load_dword v11, off, s[28:31], 0 offset:172
	buffer_load_dword v12, off, s[28:31], 0 offset:176
	buffer_load_dword v13, off, s[28:31], 0 offset:180
	v_add_co_u32 v8, vcc_lo, v8, s0
	v_add_co_ci_u32_e32 v9, vcc_lo, s1, v9, vcc_lo
	s_waitcnt vmcnt(0) lgkmcnt(0)
	v_mul_f64 v[4:5], v[12:13], v[2:3]
	v_fma_f64 v[4:5], v[10:11], v[0:1], v[4:5]
	v_mul_f64 v[0:1], v[12:13], v[0:1]
	v_mul_f64 v[4:5], v[4:5], s[2:3]
	v_fma_f64 v[0:1], v[10:11], v[2:3], -v[0:1]
	v_mul_f64 v[6:7], v[0:1], s[2:3]
	ds_read_b128 v[0:3], v128 offset:18720
	global_store_dwordx4 v[8:9], v[4:7], off
	s_clause 0x3
	buffer_load_dword v10, off, s[28:31], 0 offset:184
	buffer_load_dword v11, off, s[28:31], 0 offset:188
	buffer_load_dword v12, off, s[28:31], 0 offset:192
	buffer_load_dword v13, off, s[28:31], 0 offset:196
	v_add_co_u32 v8, vcc_lo, v8, s5
	v_add_co_ci_u32_e32 v9, vcc_lo, s4, v9, vcc_lo
	s_waitcnt vmcnt(0) lgkmcnt(0)
	v_mul_f64 v[4:5], v[12:13], v[2:3]
	v_fma_f64 v[4:5], v[10:11], v[0:1], v[4:5]
	v_mul_f64 v[0:1], v[12:13], v[0:1]
	v_mul_f64 v[4:5], v[4:5], s[2:3]
	v_fma_f64 v[0:1], v[10:11], v[2:3], -v[0:1]
	v_mul_f64 v[6:7], v[0:1], s[2:3]
	ds_read_b128 v[0:3], v128 offset:33120
	global_store_dwordx4 v[8:9], v[4:7], off
	s_clause 0x3
	buffer_load_dword v10, off, s[28:31], 0 offset:232
	buffer_load_dword v11, off, s[28:31], 0 offset:236
	buffer_load_dword v12, off, s[28:31], 0 offset:240
	buffer_load_dword v13, off, s[28:31], 0 offset:244
	v_add_co_u32 v8, vcc_lo, v8, s5
	v_add_co_ci_u32_e32 v9, vcc_lo, s4, v9, vcc_lo
	s_waitcnt vmcnt(0) lgkmcnt(0)
	v_mul_f64 v[4:5], v[12:13], v[2:3]
	v_fma_f64 v[4:5], v[10:11], v[0:1], v[4:5]
	v_mul_f64 v[0:1], v[12:13], v[0:1]
	v_mul_f64 v[4:5], v[4:5], s[2:3]
	v_fma_f64 v[0:1], v[10:11], v[2:3], -v[0:1]
	v_mul_f64 v[6:7], v[0:1], s[2:3]
	ds_read_b128 v[0:3], v128 offset:5760
	global_store_dwordx4 v[8:9], v[4:7], off
	s_clause 0x3
	buffer_load_dword v10, off, s[28:31], 0 offset:248
	buffer_load_dword v11, off, s[28:31], 0 offset:252
	buffer_load_dword v12, off, s[28:31], 0 offset:256
	buffer_load_dword v13, off, s[28:31], 0 offset:260
	v_add_co_u32 v8, vcc_lo, v8, s0
	v_add_co_ci_u32_e32 v9, vcc_lo, s1, v9, vcc_lo
	s_waitcnt vmcnt(0) lgkmcnt(0)
	v_mul_f64 v[4:5], v[12:13], v[2:3]
	v_fma_f64 v[4:5], v[10:11], v[0:1], v[4:5]
	v_mul_f64 v[0:1], v[12:13], v[0:1]
	v_mul_f64 v[4:5], v[4:5], s[2:3]
	v_fma_f64 v[0:1], v[10:11], v[2:3], -v[0:1]
	v_mul_f64 v[6:7], v[0:1], s[2:3]
	ds_read_b128 v[0:3], v128 offset:20160
	global_store_dwordx4 v[8:9], v[4:7], off
	s_clause 0x3
	buffer_load_dword v10, off, s[28:31], 0 offset:216
	buffer_load_dword v11, off, s[28:31], 0 offset:220
	buffer_load_dword v12, off, s[28:31], 0 offset:224
	buffer_load_dword v13, off, s[28:31], 0 offset:228
	v_add_co_u32 v8, vcc_lo, v8, s5
	v_add_co_ci_u32_e32 v9, vcc_lo, s4, v9, vcc_lo
	s_waitcnt vmcnt(0) lgkmcnt(0)
	v_mul_f64 v[4:5], v[12:13], v[2:3]
	v_fma_f64 v[4:5], v[10:11], v[0:1], v[4:5]
	v_mul_f64 v[0:1], v[12:13], v[0:1]
	v_mul_f64 v[4:5], v[4:5], s[2:3]
	v_fma_f64 v[0:1], v[10:11], v[2:3], -v[0:1]
	v_mul_f64 v[6:7], v[0:1], s[2:3]
	ds_read_b128 v[0:3], v128 offset:34560
	global_store_dwordx4 v[8:9], v[4:7], off
	s_clause 0x3
	buffer_load_dword v10, off, s[28:31], 0 offset:200
	buffer_load_dword v11, off, s[28:31], 0 offset:204
	buffer_load_dword v12, off, s[28:31], 0 offset:208
	buffer_load_dword v13, off, s[28:31], 0 offset:212
	v_add_co_u32 v8, vcc_lo, v8, s5
	v_add_co_ci_u32_e32 v9, vcc_lo, s4, v9, vcc_lo
	s_waitcnt vmcnt(0) lgkmcnt(0)
	v_mul_f64 v[4:5], v[12:13], v[2:3]
	v_fma_f64 v[4:5], v[10:11], v[0:1], v[4:5]
	v_mul_f64 v[0:1], v[12:13], v[0:1]
	v_mul_f64 v[4:5], v[4:5], s[2:3]
	v_fma_f64 v[0:1], v[10:11], v[2:3], -v[0:1]
	v_mul_f64 v[6:7], v[0:1], s[2:3]
	ds_read_b128 v[0:3], v128 offset:7200
	global_store_dwordx4 v[8:9], v[4:7], off
	s_clause 0x3
	buffer_load_dword v10, off, s[28:31], 0 offset:264
	buffer_load_dword v11, off, s[28:31], 0 offset:268
	buffer_load_dword v12, off, s[28:31], 0 offset:272
	buffer_load_dword v13, off, s[28:31], 0 offset:276
	v_add_co_u32 v8, vcc_lo, v8, s0
	v_add_co_ci_u32_e32 v9, vcc_lo, s1, v9, vcc_lo
	s_waitcnt vmcnt(0) lgkmcnt(0)
	v_mul_f64 v[4:5], v[12:13], v[2:3]
	v_fma_f64 v[4:5], v[10:11], v[0:1], v[4:5]
	v_mul_f64 v[0:1], v[12:13], v[0:1]
	v_mul_f64 v[4:5], v[4:5], s[2:3]
	v_fma_f64 v[0:1], v[10:11], v[2:3], -v[0:1]
	v_mul_f64 v[6:7], v[0:1], s[2:3]
	ds_read_b128 v[0:3], v128 offset:21600
	global_store_dwordx4 v[8:9], v[4:7], off
	s_clause 0x3
	buffer_load_dword v10, off, s[28:31], 0 offset:280
	buffer_load_dword v11, off, s[28:31], 0 offset:284
	buffer_load_dword v12, off, s[28:31], 0 offset:288
	buffer_load_dword v13, off, s[28:31], 0 offset:292
	v_add_co_u32 v8, vcc_lo, v8, s5
	v_add_co_ci_u32_e32 v9, vcc_lo, s4, v9, vcc_lo
	s_waitcnt vmcnt(0) lgkmcnt(0)
	v_mul_f64 v[4:5], v[12:13], v[2:3]
	v_fma_f64 v[4:5], v[10:11], v[0:1], v[4:5]
	v_mul_f64 v[0:1], v[12:13], v[0:1]
	v_mul_f64 v[4:5], v[4:5], s[2:3]
	v_fma_f64 v[0:1], v[10:11], v[2:3], -v[0:1]
	v_mul_f64 v[6:7], v[0:1], s[2:3]
	ds_read_b128 v[0:3], v128 offset:36000
	global_store_dwordx4 v[8:9], v[4:7], off
	s_clause 0x3
	buffer_load_dword v10, off, s[28:31], 0 offset:296
	buffer_load_dword v11, off, s[28:31], 0 offset:300
	buffer_load_dword v12, off, s[28:31], 0 offset:304
	buffer_load_dword v13, off, s[28:31], 0 offset:308
	v_add_co_u32 v8, vcc_lo, v8, s5
	v_add_co_ci_u32_e32 v9, vcc_lo, s4, v9, vcc_lo
	s_waitcnt vmcnt(0) lgkmcnt(0)
	v_mul_f64 v[4:5], v[12:13], v[2:3]
	v_fma_f64 v[4:5], v[10:11], v[0:1], v[4:5]
	v_mul_f64 v[0:1], v[12:13], v[0:1]
	v_mul_f64 v[4:5], v[4:5], s[2:3]
	v_fma_f64 v[0:1], v[10:11], v[2:3], -v[0:1]
	v_mul_f64 v[6:7], v[0:1], s[2:3]
	ds_read_b128 v[0:3], v128 offset:8640
	global_store_dwordx4 v[8:9], v[4:7], off
	s_clause 0x3
	buffer_load_dword v10, off, s[28:31], 0 offset:312
	buffer_load_dword v11, off, s[28:31], 0 offset:316
	buffer_load_dword v12, off, s[28:31], 0 offset:320
	buffer_load_dword v13, off, s[28:31], 0 offset:324
	v_add_co_u32 v8, vcc_lo, v8, s0
	v_add_co_ci_u32_e32 v9, vcc_lo, s1, v9, vcc_lo
	s_waitcnt vmcnt(0) lgkmcnt(0)
	v_mul_f64 v[4:5], v[12:13], v[2:3]
	v_fma_f64 v[4:5], v[10:11], v[0:1], v[4:5]
	v_mul_f64 v[0:1], v[12:13], v[0:1]
	v_mul_f64 v[4:5], v[4:5], s[2:3]
	v_fma_f64 v[0:1], v[10:11], v[2:3], -v[0:1]
	v_mul_f64 v[6:7], v[0:1], s[2:3]
	ds_read_b128 v[0:3], v128 offset:23040
	global_store_dwordx4 v[8:9], v[4:7], off
	s_clause 0x3
	buffer_load_dword v10, off, s[28:31], 0 offset:328
	buffer_load_dword v11, off, s[28:31], 0 offset:332
	buffer_load_dword v12, off, s[28:31], 0 offset:336
	buffer_load_dword v13, off, s[28:31], 0 offset:340
	v_add_co_u32 v8, vcc_lo, v8, s5
	v_add_co_ci_u32_e32 v9, vcc_lo, s4, v9, vcc_lo
	s_waitcnt vmcnt(0) lgkmcnt(0)
	v_mul_f64 v[4:5], v[12:13], v[2:3]
	v_fma_f64 v[4:5], v[10:11], v[0:1], v[4:5]
	v_mul_f64 v[0:1], v[12:13], v[0:1]
	v_mul_f64 v[4:5], v[4:5], s[2:3]
	v_fma_f64 v[0:1], v[10:11], v[2:3], -v[0:1]
	v_mul_f64 v[6:7], v[0:1], s[2:3]
	ds_read_b128 v[0:3], v128 offset:37440
	global_store_dwordx4 v[8:9], v[4:7], off
	s_clause 0x3
	buffer_load_dword v10, off, s[28:31], 0 offset:376
	buffer_load_dword v11, off, s[28:31], 0 offset:380
	buffer_load_dword v12, off, s[28:31], 0 offset:384
	buffer_load_dword v13, off, s[28:31], 0 offset:388
	v_add_co_u32 v8, vcc_lo, v8, s5
	v_add_co_ci_u32_e32 v9, vcc_lo, s4, v9, vcc_lo
	s_waitcnt vmcnt(0) lgkmcnt(0)
	v_mul_f64 v[4:5], v[12:13], v[2:3]
	v_fma_f64 v[4:5], v[10:11], v[0:1], v[4:5]
	v_mul_f64 v[0:1], v[12:13], v[0:1]
	v_mul_f64 v[4:5], v[4:5], s[2:3]
	v_fma_f64 v[0:1], v[10:11], v[2:3], -v[0:1]
	v_mul_f64 v[6:7], v[0:1], s[2:3]
	ds_read_b128 v[0:3], v128 offset:10080
	global_store_dwordx4 v[8:9], v[4:7], off
	s_clause 0x3
	buffer_load_dword v10, off, s[28:31], 0 offset:392
	buffer_load_dword v11, off, s[28:31], 0 offset:396
	buffer_load_dword v12, off, s[28:31], 0 offset:400
	buffer_load_dword v13, off, s[28:31], 0 offset:404
	v_add_co_u32 v8, vcc_lo, v8, s0
	v_add_co_ci_u32_e32 v9, vcc_lo, s1, v9, vcc_lo
	s_waitcnt vmcnt(0) lgkmcnt(0)
	v_mul_f64 v[4:5], v[12:13], v[2:3]
	v_fma_f64 v[4:5], v[10:11], v[0:1], v[4:5]
	v_mul_f64 v[0:1], v[12:13], v[0:1]
	v_mul_f64 v[4:5], v[4:5], s[2:3]
	v_fma_f64 v[0:1], v[10:11], v[2:3], -v[0:1]
	v_mul_f64 v[6:7], v[0:1], s[2:3]
	ds_read_b128 v[0:3], v128 offset:24480
	global_store_dwordx4 v[8:9], v[4:7], off
	s_clause 0x3
	buffer_load_dword v10, off, s[28:31], 0 offset:360
	buffer_load_dword v11, off, s[28:31], 0 offset:364
	buffer_load_dword v12, off, s[28:31], 0 offset:368
	buffer_load_dword v13, off, s[28:31], 0 offset:372
	v_add_co_u32 v8, vcc_lo, v8, s5
	v_add_co_ci_u32_e32 v9, vcc_lo, s4, v9, vcc_lo
	s_waitcnt vmcnt(0) lgkmcnt(0)
	v_mul_f64 v[4:5], v[12:13], v[2:3]
	v_fma_f64 v[4:5], v[10:11], v[0:1], v[4:5]
	v_mul_f64 v[0:1], v[12:13], v[0:1]
	v_mul_f64 v[4:5], v[4:5], s[2:3]
	v_fma_f64 v[0:1], v[10:11], v[2:3], -v[0:1]
	v_mul_f64 v[6:7], v[0:1], s[2:3]
	ds_read_b128 v[0:3], v128 offset:38880
	global_store_dwordx4 v[8:9], v[4:7], off
	s_clause 0x3
	buffer_load_dword v10, off, s[28:31], 0 offset:344
	buffer_load_dword v11, off, s[28:31], 0 offset:348
	buffer_load_dword v12, off, s[28:31], 0 offset:352
	buffer_load_dword v13, off, s[28:31], 0 offset:356
	v_add_co_u32 v8, vcc_lo, v8, s5
	v_add_co_ci_u32_e32 v9, vcc_lo, s4, v9, vcc_lo
	s_waitcnt vmcnt(0) lgkmcnt(0)
	v_mul_f64 v[4:5], v[12:13], v[2:3]
	v_fma_f64 v[4:5], v[10:11], v[0:1], v[4:5]
	v_mul_f64 v[0:1], v[12:13], v[0:1]
	v_mul_f64 v[4:5], v[4:5], s[2:3]
	v_fma_f64 v[0:1], v[10:11], v[2:3], -v[0:1]
	v_mul_f64 v[6:7], v[0:1], s[2:3]
	ds_read_b128 v[0:3], v128 offset:11520
	global_store_dwordx4 v[8:9], v[4:7], off
	s_clause 0x3
	buffer_load_dword v10, off, s[28:31], 0 offset:408
	buffer_load_dword v11, off, s[28:31], 0 offset:412
	buffer_load_dword v12, off, s[28:31], 0 offset:416
	buffer_load_dword v13, off, s[28:31], 0 offset:420
	v_add_co_u32 v8, vcc_lo, v8, s0
	v_add_co_ci_u32_e32 v9, vcc_lo, s1, v9, vcc_lo
	s_waitcnt vmcnt(0) lgkmcnt(0)
	v_mul_f64 v[4:5], v[12:13], v[2:3]
	v_fma_f64 v[4:5], v[10:11], v[0:1], v[4:5]
	v_mul_f64 v[0:1], v[12:13], v[0:1]
	v_mul_f64 v[4:5], v[4:5], s[2:3]
	v_fma_f64 v[0:1], v[10:11], v[2:3], -v[0:1]
	v_mul_f64 v[6:7], v[0:1], s[2:3]
	ds_read_b128 v[0:3], v128 offset:25920
	global_store_dwordx4 v[8:9], v[4:7], off
	s_clause 0x3
	buffer_load_dword v10, off, s[28:31], 0 offset:424
	buffer_load_dword v11, off, s[28:31], 0 offset:428
	buffer_load_dword v12, off, s[28:31], 0 offset:432
	buffer_load_dword v13, off, s[28:31], 0 offset:436
	v_add_co_u32 v8, vcc_lo, v8, s5
	v_add_co_ci_u32_e32 v9, vcc_lo, s4, v9, vcc_lo
	s_waitcnt vmcnt(0) lgkmcnt(0)
	v_mul_f64 v[4:5], v[12:13], v[2:3]
	v_fma_f64 v[4:5], v[10:11], v[0:1], v[4:5]
	v_mul_f64 v[0:1], v[12:13], v[0:1]
	v_mul_f64 v[4:5], v[4:5], s[2:3]
	v_fma_f64 v[0:1], v[10:11], v[2:3], -v[0:1]
	v_mul_f64 v[6:7], v[0:1], s[2:3]
	ds_read_b128 v[0:3], v128 offset:40320
	global_store_dwordx4 v[8:9], v[4:7], off
	s_clause 0x3
	buffer_load_dword v10, off, s[28:31], 0 offset:440
	buffer_load_dword v11, off, s[28:31], 0 offset:444
	buffer_load_dword v12, off, s[28:31], 0 offset:448
	buffer_load_dword v13, off, s[28:31], 0 offset:452
	v_add_co_u32 v8, vcc_lo, v8, s5
	v_add_co_ci_u32_e32 v9, vcc_lo, s4, v9, vcc_lo
	s_waitcnt vmcnt(0) lgkmcnt(0)
	v_mul_f64 v[4:5], v[12:13], v[2:3]
	v_fma_f64 v[4:5], v[10:11], v[0:1], v[4:5]
	v_mul_f64 v[0:1], v[12:13], v[0:1]
	v_mul_f64 v[4:5], v[4:5], s[2:3]
	v_fma_f64 v[0:1], v[10:11], v[2:3], -v[0:1]
	v_mul_f64 v[6:7], v[0:1], s[2:3]
	ds_read_b128 v[0:3], v128 offset:12960
	global_store_dwordx4 v[8:9], v[4:7], off
	s_clause 0x3
	buffer_load_dword v10, off, s[28:31], 0 offset:456
	buffer_load_dword v11, off, s[28:31], 0 offset:460
	buffer_load_dword v12, off, s[28:31], 0 offset:464
	buffer_load_dword v13, off, s[28:31], 0 offset:468
	s_waitcnt vmcnt(0) lgkmcnt(0)
	v_mul_f64 v[4:5], v[12:13], v[2:3]
	v_fma_f64 v[4:5], v[10:11], v[0:1], v[4:5]
	v_mul_f64 v[0:1], v[12:13], v[0:1]
	v_mul_f64 v[4:5], v[4:5], s[2:3]
	v_fma_f64 v[0:1], v[10:11], v[2:3], -v[0:1]
	v_add_co_u32 v10, vcc_lo, v8, s0
	v_add_co_ci_u32_e32 v11, vcc_lo, s1, v9, vcc_lo
	v_mul_f64 v[6:7], v[0:1], s[2:3]
	ds_read_b128 v[0:3], v128 offset:27360
	global_store_dwordx4 v[10:11], v[4:7], off
	s_clause 0x3
	buffer_load_dword v12, off, s[28:31], 0 offset:472
	buffer_load_dword v13, off, s[28:31], 0 offset:476
	;; [unrolled: 1-line block ×4, first 2 shown]
	s_waitcnt vmcnt(0) lgkmcnt(0)
	v_mul_f64 v[4:5], v[14:15], v[2:3]
	v_fma_f64 v[4:5], v[12:13], v[0:1], v[4:5]
	v_mul_f64 v[0:1], v[14:15], v[0:1]
	v_mul_f64 v[6:7], v[4:5], s[2:3]
	v_fma_f64 v[0:1], v[12:13], v[2:3], -v[0:1]
	v_add_co_u32 v4, vcc_lo, v10, s5
	v_add_co_ci_u32_e32 v5, vcc_lo, s4, v11, vcc_lo
	v_mul_f64 v[8:9], v[0:1], s[2:3]
	ds_read_b128 v[0:3], v128 offset:41760
	global_store_dwordx4 v[4:5], v[6:9], off
	s_clause 0x3
	buffer_load_dword v8, off, s[28:31], 0 offset:56
	buffer_load_dword v9, off, s[28:31], 0 offset:60
	;; [unrolled: 1-line block ×4, first 2 shown]
	s_waitcnt vmcnt(0) lgkmcnt(0)
	v_mul_f64 v[6:7], v[10:11], v[2:3]
	v_fma_f64 v[6:7], v[8:9], v[0:1], v[6:7]
	v_mul_f64 v[0:1], v[10:11], v[0:1]
	v_mul_f64 v[6:7], v[6:7], s[2:3]
	v_fma_f64 v[0:1], v[8:9], v[2:3], -v[0:1]
	v_mul_f64 v[8:9], v[0:1], s[2:3]
	v_add_co_u32 v0, vcc_lo, v4, s5
	v_add_co_ci_u32_e32 v1, vcc_lo, s4, v5, vcc_lo
	global_store_dwordx4 v[0:1], v[6:9], off
.LBB0_2:
	s_endpgm
	.section	.rodata,"a",@progbits
	.p2align	6, 0x0
	.amdhsa_kernel bluestein_single_fwd_len2700_dim1_dp_op_CI_CI
		.amdhsa_group_segment_fixed_size 43200
		.amdhsa_private_segment_fixed_size 1692
		.amdhsa_kernarg_size 104
		.amdhsa_user_sgpr_count 6
		.amdhsa_user_sgpr_private_segment_buffer 1
		.amdhsa_user_sgpr_dispatch_ptr 0
		.amdhsa_user_sgpr_queue_ptr 0
		.amdhsa_user_sgpr_kernarg_segment_ptr 1
		.amdhsa_user_sgpr_dispatch_id 0
		.amdhsa_user_sgpr_flat_scratch_init 0
		.amdhsa_user_sgpr_private_segment_size 0
		.amdhsa_wavefront_size32 1
		.amdhsa_uses_dynamic_stack 0
		.amdhsa_system_sgpr_private_segment_wavefront_offset 1
		.amdhsa_system_sgpr_workgroup_id_x 1
		.amdhsa_system_sgpr_workgroup_id_y 0
		.amdhsa_system_sgpr_workgroup_id_z 0
		.amdhsa_system_sgpr_workgroup_info 0
		.amdhsa_system_vgpr_workitem_id 0
		.amdhsa_next_free_vgpr 256
		.amdhsa_next_free_sgpr 32
		.amdhsa_reserve_vcc 1
		.amdhsa_reserve_flat_scratch 0
		.amdhsa_float_round_mode_32 0
		.amdhsa_float_round_mode_16_64 0
		.amdhsa_float_denorm_mode_32 3
		.amdhsa_float_denorm_mode_16_64 3
		.amdhsa_dx10_clamp 1
		.amdhsa_ieee_mode 1
		.amdhsa_fp16_overflow 0
		.amdhsa_workgroup_processor_mode 1
		.amdhsa_memory_ordered 1
		.amdhsa_forward_progress 0
		.amdhsa_shared_vgpr_count 0
		.amdhsa_exception_fp_ieee_invalid_op 0
		.amdhsa_exception_fp_denorm_src 0
		.amdhsa_exception_fp_ieee_div_zero 0
		.amdhsa_exception_fp_ieee_overflow 0
		.amdhsa_exception_fp_ieee_underflow 0
		.amdhsa_exception_fp_ieee_inexact 0
		.amdhsa_exception_int_div_zero 0
	.end_amdhsa_kernel
	.text
.Lfunc_end0:
	.size	bluestein_single_fwd_len2700_dim1_dp_op_CI_CI, .Lfunc_end0-bluestein_single_fwd_len2700_dim1_dp_op_CI_CI
                                        ; -- End function
	.section	.AMDGPU.csdata,"",@progbits
; Kernel info:
; codeLenInByte = 50544
; NumSgprs: 34
; NumVgprs: 256
; ScratchSize: 1692
; MemoryBound: 0
; FloatMode: 240
; IeeeMode: 1
; LDSByteSize: 43200 bytes/workgroup (compile time only)
; SGPRBlocks: 4
; VGPRBlocks: 31
; NumSGPRsForWavesPerEU: 34
; NumVGPRsForWavesPerEU: 256
; Occupancy: 3
; WaveLimiterHint : 1
; COMPUTE_PGM_RSRC2:SCRATCH_EN: 1
; COMPUTE_PGM_RSRC2:USER_SGPR: 6
; COMPUTE_PGM_RSRC2:TRAP_HANDLER: 0
; COMPUTE_PGM_RSRC2:TGID_X_EN: 1
; COMPUTE_PGM_RSRC2:TGID_Y_EN: 0
; COMPUTE_PGM_RSRC2:TGID_Z_EN: 0
; COMPUTE_PGM_RSRC2:TIDIG_COMP_CNT: 0
	.text
	.p2alignl 6, 3214868480
	.fill 48, 4, 3214868480
	.type	__hip_cuid_abfcd755fcccc7b6,@object ; @__hip_cuid_abfcd755fcccc7b6
	.section	.bss,"aw",@nobits
	.globl	__hip_cuid_abfcd755fcccc7b6
__hip_cuid_abfcd755fcccc7b6:
	.byte	0                               ; 0x0
	.size	__hip_cuid_abfcd755fcccc7b6, 1

	.ident	"AMD clang version 19.0.0git (https://github.com/RadeonOpenCompute/llvm-project roc-6.4.0 25133 c7fe45cf4b819c5991fe208aaa96edf142730f1d)"
	.section	".note.GNU-stack","",@progbits
	.addrsig
	.addrsig_sym __hip_cuid_abfcd755fcccc7b6
	.amdgpu_metadata
---
amdhsa.kernels:
  - .args:
      - .actual_access:  read_only
        .address_space:  global
        .offset:         0
        .size:           8
        .value_kind:     global_buffer
      - .actual_access:  read_only
        .address_space:  global
        .offset:         8
        .size:           8
        .value_kind:     global_buffer
      - .actual_access:  read_only
        .address_space:  global
        .offset:         16
        .size:           8
        .value_kind:     global_buffer
      - .actual_access:  read_only
        .address_space:  global
        .offset:         24
        .size:           8
        .value_kind:     global_buffer
      - .actual_access:  read_only
        .address_space:  global
        .offset:         32
        .size:           8
        .value_kind:     global_buffer
      - .offset:         40
        .size:           8
        .value_kind:     by_value
      - .address_space:  global
        .offset:         48
        .size:           8
        .value_kind:     global_buffer
      - .address_space:  global
        .offset:         56
        .size:           8
        .value_kind:     global_buffer
      - .address_space:  global
        .offset:         64
        .size:           8
        .value_kind:     global_buffer
      - .address_space:  global
        .offset:         72
        .size:           8
        .value_kind:     global_buffer
      - .offset:         80
        .size:           4
        .value_kind:     by_value
      - .address_space:  global
        .offset:         88
        .size:           8
        .value_kind:     global_buffer
      - .address_space:  global
        .offset:         96
        .size:           8
        .value_kind:     global_buffer
    .group_segment_fixed_size: 43200
    .kernarg_segment_align: 8
    .kernarg_segment_size: 104
    .language:       OpenCL C
    .language_version:
      - 2
      - 0
    .max_flat_workgroup_size: 90
    .name:           bluestein_single_fwd_len2700_dim1_dp_op_CI_CI
    .private_segment_fixed_size: 1692
    .sgpr_count:     34
    .sgpr_spill_count: 0
    .symbol:         bluestein_single_fwd_len2700_dim1_dp_op_CI_CI.kd
    .uniform_work_group_size: 1
    .uses_dynamic_stack: false
    .vgpr_count:     256
    .vgpr_spill_count: 422
    .wavefront_size: 32
    .workgroup_processor_mode: 1
amdhsa.target:   amdgcn-amd-amdhsa--gfx1030
amdhsa.version:
  - 1
  - 2
...

	.end_amdgpu_metadata
